;; amdgpu-corpus repo=zjin-lcf/HeCBench kind=compiled arch=gfx1250 opt=O3
	.amdgcn_target "amdgcn-amd-amdhsa--gfx1250"
	.amdhsa_code_object_version 6
	.text
	.p2align	2                               ; -- Begin function __ockl_fprintf_append_string_n
	.type	__ockl_fprintf_append_string_n,@function
__ockl_fprintf_append_string_n:         ; @__ockl_fprintf_append_string_n
; %bb.0:
	s_wait_loadcnt_dscnt 0x0
	s_wait_kmcnt 0x0
	v_dual_mov_b32 v9, v3 :: v_dual_mov_b32 v8, v2
	v_or_b32_e32 v2, 2, v0
	v_cmp_eq_u32_e64 s0, 0, v6
	v_mbcnt_lo_u32_b32 v30, -1, 0
	s_mov_b32 s7, 0
	v_cndmask_b32_e64 v0, v2, v0, s0
	s_mov_b32 s0, exec_lo
	v_cmpx_ne_u64_e32 0, v[8:9]
	s_xor_b32 s6, exec_lo, s0
	s_cbranch_execz .LBB0_86
; %bb.1:
	s_load_b64 s[2:3], s[8:9], 0x50
	v_mov_b64_e32 v[12:13], 0x100000002
	v_dual_mov_b32 v11, 0 :: v_dual_bitop2_b32 v6, 2, v0 bitop3:0x40
	v_and_b32_e32 v0, -3, v0
	s_mov_b32 s10, 0
	s_branch .LBB0_3
.LBB0_2:                                ;   in Loop: Header=BB0_3 Depth=1
	s_or_b32 exec_lo, exec_lo, s11
	v_sub_nc_u64_e32 v[4:5], v[4:5], v[32:33]
	v_add_nc_u64_e32 v[8:9], v[8:9], v[32:33]
	s_delay_alu instid0(VALU_DEP_2) | instskip(SKIP_1) | instid1(SALU_CYCLE_1)
	v_cmp_eq_u64_e32 vcc_lo, 0, v[4:5]
	s_or_b32 s10, vcc_lo, s10
	s_and_not1_b32 exec_lo, exec_lo, s10
	s_cbranch_execz .LBB0_85
.LBB0_3:                                ; =>This Loop Header: Depth=1
                                        ;     Child Loop BB0_6 Depth 2
                                        ;     Child Loop BB0_14 Depth 2
	;; [unrolled: 1-line block ×11, first 2 shown]
	v_min_u64 v[32:33], v[4:5], 56
	s_delay_alu instid0(VALU_DEP_3)
	v_add_nc_u64_e32 v[16:17], 8, v[8:9]
	s_mov_b32 s0, exec_lo
	v_cmpx_gt_u64_e32 8, v[4:5]
	s_xor_b32 s4, exec_lo, s0
	s_cbranch_execz .LBB0_9
; %bb.4:                                ;   in Loop: Header=BB0_3 Depth=1
	s_wait_loadcnt 0x0
	v_mov_b64_e32 v[2:3], 0
	s_mov_b32 s5, exec_lo
	v_cmpx_ne_u64_e32 0, v[4:5]
	s_cbranch_execz .LBB0_8
; %bb.5:                                ;   in Loop: Header=BB0_3 Depth=1
	v_mov_b64_e32 v[2:3], 0
	v_mov_b64_e32 v[14:15], v[8:9]
	v_lshlrev_b32_e32 v10, 3, v32
	s_mov_b64 s[0:1], 0
	s_mov_b32 s11, 0
.LBB0_6:                                ;   Parent Loop BB0_3 Depth=1
                                        ; =>  This Inner Loop Header: Depth=2
	global_load_u8 v7, v[14:15], off
	v_mov_b32_e32 v17, s7
	s_wait_xcnt 0x0
	v_add_nc_u64_e32 v[14:15], 1, v[14:15]
	s_wait_loadcnt 0x0
	v_and_b32_e32 v16, 0xffff, v7
	s_delay_alu instid0(VALU_DEP_1) | instskip(SKIP_1) | instid1(SALU_CYCLE_1)
	v_lshlrev_b64_e32 v[16:17], s0, v[16:17]
	s_add_nc_u64 s[0:1], s[0:1], 8
	v_cmp_eq_u32_e32 vcc_lo, s0, v10
	s_delay_alu instid0(VALU_DEP_2) | instskip(NEXT) | instid1(VALU_DEP_3)
	v_or_b32_e32 v3, v17, v3
	v_or_b32_e32 v2, v16, v2
	s_or_b32 s11, vcc_lo, s11
	s_delay_alu instid0(SALU_CYCLE_1)
	s_and_not1_b32 exec_lo, exec_lo, s11
	s_cbranch_execnz .LBB0_6
; %bb.7:                                ;   in Loop: Header=BB0_3 Depth=1
	s_or_b32 exec_lo, exec_lo, s11
.LBB0_8:                                ;   in Loop: Header=BB0_3 Depth=1
	s_delay_alu instid0(SALU_CYCLE_1)
	s_or_b32 exec_lo, exec_lo, s5
	v_mov_b64_e32 v[16:17], v[8:9]
.LBB0_9:                                ;   in Loop: Header=BB0_3 Depth=1
	s_or_saveexec_b32 s0, s4
	v_mov_b32_e32 v7, 0
	s_xor_b32 exec_lo, exec_lo, s0
	s_cbranch_execz .LBB0_11
; %bb.10:                               ;   in Loop: Header=BB0_3 Depth=1
	s_wait_loadcnt 0x0
	global_load_b64 v[2:3], v[8:9], off
	v_add_nc_u32_e32 v7, -8, v32
.LBB0_11:                               ;   in Loop: Header=BB0_3 Depth=1
	s_wait_xcnt 0x0
	s_or_b32 exec_lo, exec_lo, s0
	v_add_nc_u64_e32 v[18:19], 8, v[16:17]
                                        ; implicit-def: $vgpr14_vgpr15
	s_mov_b32 s0, exec_lo
	v_cmpx_gt_u32_e32 8, v7
	s_xor_b32 s11, exec_lo, s0
	s_cbranch_execz .LBB0_17
; %bb.12:                               ;   in Loop: Header=BB0_3 Depth=1
	v_mov_b64_e32 v[14:15], 0
	s_mov_b32 s12, exec_lo
	v_cmpx_ne_u32_e32 0, v7
	s_cbranch_execz .LBB0_16
; %bb.13:                               ;   in Loop: Header=BB0_3 Depth=1
	v_mov_b64_e32 v[14:15], 0
	s_mov_b64 s[0:1], 0
	s_mov_b32 s13, 0
	s_mov_b64 s[4:5], 0
.LBB0_14:                               ;   Parent Loop BB0_3 Depth=1
                                        ; =>  This Inner Loop Header: Depth=2
	s_delay_alu instid0(SALU_CYCLE_1) | instskip(SKIP_1) | instid1(SALU_CYCLE_1)
	v_add_nc_u64_e32 v[18:19], s[4:5], v[16:17]
	s_add_nc_u64 s[4:5], s[4:5], 1
	v_cmp_eq_u32_e32 vcc_lo, s4, v7
	global_load_u8 v10, v[18:19], off
	s_wait_xcnt 0x0
	v_mov_b32_e32 v19, s7
	s_or_b32 s13, vcc_lo, s13
	s_wait_loadcnt 0x0
	v_and_b32_e32 v18, 0xffff, v10
	s_delay_alu instid0(VALU_DEP_1) | instskip(SKIP_1) | instid1(VALU_DEP_1)
	v_lshlrev_b64_e32 v[18:19], s0, v[18:19]
	s_add_nc_u64 s[0:1], s[0:1], 8
	v_or_b32_e32 v15, v19, v15
	s_delay_alu instid0(VALU_DEP_2)
	v_or_b32_e32 v14, v18, v14
	s_and_not1_b32 exec_lo, exec_lo, s13
	s_cbranch_execnz .LBB0_14
; %bb.15:                               ;   in Loop: Header=BB0_3 Depth=1
	s_or_b32 exec_lo, exec_lo, s13
.LBB0_16:                               ;   in Loop: Header=BB0_3 Depth=1
	s_delay_alu instid0(SALU_CYCLE_1)
	s_or_b32 exec_lo, exec_lo, s12
	v_mov_b64_e32 v[18:19], v[16:17]
                                        ; implicit-def: $vgpr7
.LBB0_17:                               ;   in Loop: Header=BB0_3 Depth=1
	s_or_saveexec_b32 s0, s11
	v_mov_b32_e32 v10, 0
	s_xor_b32 exec_lo, exec_lo, s0
	s_cbranch_execz .LBB0_19
; %bb.18:                               ;   in Loop: Header=BB0_3 Depth=1
	global_load_b64 v[14:15], v[16:17], off
	v_add_nc_u32_e32 v10, -8, v7
.LBB0_19:                               ;   in Loop: Header=BB0_3 Depth=1
	s_wait_xcnt 0x0
	s_or_b32 exec_lo, exec_lo, s0
	v_add_nc_u64_e32 v[20:21], 8, v[18:19]
	s_mov_b32 s0, exec_lo
	v_cmpx_gt_u32_e32 8, v10
	s_xor_b32 s11, exec_lo, s0
	s_cbranch_execz .LBB0_25
; %bb.20:                               ;   in Loop: Header=BB0_3 Depth=1
	v_mov_b64_e32 v[16:17], 0
	s_mov_b32 s12, exec_lo
	v_cmpx_ne_u32_e32 0, v10
	s_cbranch_execz .LBB0_24
; %bb.21:                               ;   in Loop: Header=BB0_3 Depth=1
	v_mov_b64_e32 v[16:17], 0
	s_mov_b64 s[0:1], 0
	s_mov_b32 s13, 0
	s_mov_b64 s[4:5], 0
.LBB0_22:                               ;   Parent Loop BB0_3 Depth=1
                                        ; =>  This Inner Loop Header: Depth=2
	s_delay_alu instid0(SALU_CYCLE_1) | instskip(SKIP_1) | instid1(SALU_CYCLE_1)
	v_add_nc_u64_e32 v[20:21], s[4:5], v[18:19]
	s_add_nc_u64 s[4:5], s[4:5], 1
	v_cmp_eq_u32_e32 vcc_lo, s4, v10
	global_load_u8 v7, v[20:21], off
	s_wait_xcnt 0x0
	v_mov_b32_e32 v21, s7
	s_or_b32 s13, vcc_lo, s13
	s_wait_loadcnt 0x0
	v_and_b32_e32 v20, 0xffff, v7
	s_delay_alu instid0(VALU_DEP_1) | instskip(SKIP_1) | instid1(VALU_DEP_1)
	v_lshlrev_b64_e32 v[20:21], s0, v[20:21]
	s_add_nc_u64 s[0:1], s[0:1], 8
	v_or_b32_e32 v17, v21, v17
	s_delay_alu instid0(VALU_DEP_2)
	v_or_b32_e32 v16, v20, v16
	s_and_not1_b32 exec_lo, exec_lo, s13
	s_cbranch_execnz .LBB0_22
; %bb.23:                               ;   in Loop: Header=BB0_3 Depth=1
	s_or_b32 exec_lo, exec_lo, s13
.LBB0_24:                               ;   in Loop: Header=BB0_3 Depth=1
	s_delay_alu instid0(SALU_CYCLE_1)
	s_or_b32 exec_lo, exec_lo, s12
	v_mov_b64_e32 v[20:21], v[18:19]
                                        ; implicit-def: $vgpr10
.LBB0_25:                               ;   in Loop: Header=BB0_3 Depth=1
	s_or_saveexec_b32 s0, s11
	v_mov_b32_e32 v7, 0
	s_xor_b32 exec_lo, exec_lo, s0
	s_cbranch_execz .LBB0_27
; %bb.26:                               ;   in Loop: Header=BB0_3 Depth=1
	global_load_b64 v[16:17], v[18:19], off
	v_add_nc_u32_e32 v7, -8, v10
.LBB0_27:                               ;   in Loop: Header=BB0_3 Depth=1
	s_wait_xcnt 0x0
	s_or_b32 exec_lo, exec_lo, s0
	v_add_nc_u64_e32 v[22:23], 8, v[20:21]
                                        ; implicit-def: $vgpr18_vgpr19
	s_mov_b32 s0, exec_lo
	v_cmpx_gt_u32_e32 8, v7
	s_xor_b32 s11, exec_lo, s0
	s_cbranch_execz .LBB0_33
; %bb.28:                               ;   in Loop: Header=BB0_3 Depth=1
	v_mov_b64_e32 v[18:19], 0
	s_mov_b32 s12, exec_lo
	v_cmpx_ne_u32_e32 0, v7
	s_cbranch_execz .LBB0_32
; %bb.29:                               ;   in Loop: Header=BB0_3 Depth=1
	v_mov_b64_e32 v[18:19], 0
	s_mov_b64 s[0:1], 0
	s_mov_b32 s13, 0
	s_mov_b64 s[4:5], 0
.LBB0_30:                               ;   Parent Loop BB0_3 Depth=1
                                        ; =>  This Inner Loop Header: Depth=2
	s_delay_alu instid0(SALU_CYCLE_1) | instskip(SKIP_1) | instid1(SALU_CYCLE_1)
	v_add_nc_u64_e32 v[22:23], s[4:5], v[20:21]
	s_add_nc_u64 s[4:5], s[4:5], 1
	v_cmp_eq_u32_e32 vcc_lo, s4, v7
	global_load_u8 v10, v[22:23], off
	s_wait_xcnt 0x0
	v_mov_b32_e32 v23, s7
	s_or_b32 s13, vcc_lo, s13
	s_wait_loadcnt 0x0
	v_and_b32_e32 v22, 0xffff, v10
	s_delay_alu instid0(VALU_DEP_1) | instskip(SKIP_1) | instid1(VALU_DEP_1)
	v_lshlrev_b64_e32 v[22:23], s0, v[22:23]
	s_add_nc_u64 s[0:1], s[0:1], 8
	v_or_b32_e32 v19, v23, v19
	s_delay_alu instid0(VALU_DEP_2)
	v_or_b32_e32 v18, v22, v18
	s_and_not1_b32 exec_lo, exec_lo, s13
	s_cbranch_execnz .LBB0_30
; %bb.31:                               ;   in Loop: Header=BB0_3 Depth=1
	s_or_b32 exec_lo, exec_lo, s13
.LBB0_32:                               ;   in Loop: Header=BB0_3 Depth=1
	s_delay_alu instid0(SALU_CYCLE_1)
	s_or_b32 exec_lo, exec_lo, s12
	v_mov_b64_e32 v[22:23], v[20:21]
                                        ; implicit-def: $vgpr7
.LBB0_33:                               ;   in Loop: Header=BB0_3 Depth=1
	s_or_saveexec_b32 s0, s11
	v_mov_b32_e32 v10, 0
	s_xor_b32 exec_lo, exec_lo, s0
	s_cbranch_execz .LBB0_35
; %bb.34:                               ;   in Loop: Header=BB0_3 Depth=1
	global_load_b64 v[18:19], v[20:21], off
	v_add_nc_u32_e32 v10, -8, v7
.LBB0_35:                               ;   in Loop: Header=BB0_3 Depth=1
	s_wait_xcnt 0x0
	s_or_b32 exec_lo, exec_lo, s0
	v_add_nc_u64_e32 v[24:25], 8, v[22:23]
	s_mov_b32 s0, exec_lo
	v_cmpx_gt_u32_e32 8, v10
	s_xor_b32 s11, exec_lo, s0
	s_cbranch_execz .LBB0_41
; %bb.36:                               ;   in Loop: Header=BB0_3 Depth=1
	v_mov_b64_e32 v[20:21], 0
	s_mov_b32 s12, exec_lo
	v_cmpx_ne_u32_e32 0, v10
	s_cbranch_execz .LBB0_40
; %bb.37:                               ;   in Loop: Header=BB0_3 Depth=1
	v_mov_b64_e32 v[20:21], 0
	s_mov_b64 s[0:1], 0
	s_mov_b32 s13, 0
	s_mov_b64 s[4:5], 0
.LBB0_38:                               ;   Parent Loop BB0_3 Depth=1
                                        ; =>  This Inner Loop Header: Depth=2
	s_delay_alu instid0(SALU_CYCLE_1) | instskip(SKIP_1) | instid1(SALU_CYCLE_1)
	v_add_nc_u64_e32 v[24:25], s[4:5], v[22:23]
	s_add_nc_u64 s[4:5], s[4:5], 1
	v_cmp_eq_u32_e32 vcc_lo, s4, v10
	global_load_u8 v7, v[24:25], off
	s_wait_xcnt 0x0
	v_mov_b32_e32 v25, s7
	s_or_b32 s13, vcc_lo, s13
	s_wait_loadcnt 0x0
	v_and_b32_e32 v24, 0xffff, v7
	s_delay_alu instid0(VALU_DEP_1) | instskip(SKIP_1) | instid1(VALU_DEP_1)
	v_lshlrev_b64_e32 v[24:25], s0, v[24:25]
	s_add_nc_u64 s[0:1], s[0:1], 8
	v_or_b32_e32 v21, v25, v21
	s_delay_alu instid0(VALU_DEP_2)
	v_or_b32_e32 v20, v24, v20
	s_and_not1_b32 exec_lo, exec_lo, s13
	s_cbranch_execnz .LBB0_38
; %bb.39:                               ;   in Loop: Header=BB0_3 Depth=1
	s_or_b32 exec_lo, exec_lo, s13
.LBB0_40:                               ;   in Loop: Header=BB0_3 Depth=1
	s_delay_alu instid0(SALU_CYCLE_1)
	s_or_b32 exec_lo, exec_lo, s12
	v_mov_b64_e32 v[24:25], v[22:23]
                                        ; implicit-def: $vgpr10
.LBB0_41:                               ;   in Loop: Header=BB0_3 Depth=1
	s_or_saveexec_b32 s0, s11
	v_mov_b32_e32 v7, 0
	s_xor_b32 exec_lo, exec_lo, s0
	s_cbranch_execz .LBB0_43
; %bb.42:                               ;   in Loop: Header=BB0_3 Depth=1
	global_load_b64 v[20:21], v[22:23], off
	v_add_nc_u32_e32 v7, -8, v10
.LBB0_43:                               ;   in Loop: Header=BB0_3 Depth=1
	s_wait_xcnt 0x0
	s_or_b32 exec_lo, exec_lo, s0
	v_add_nc_u64_e32 v[26:27], 8, v[24:25]
                                        ; implicit-def: $vgpr22_vgpr23
	s_mov_b32 s0, exec_lo
	v_cmpx_gt_u32_e32 8, v7
	s_xor_b32 s11, exec_lo, s0
	s_cbranch_execz .LBB0_49
; %bb.44:                               ;   in Loop: Header=BB0_3 Depth=1
	v_mov_b64_e32 v[22:23], 0
	s_mov_b32 s12, exec_lo
	v_cmpx_ne_u32_e32 0, v7
	s_cbranch_execz .LBB0_48
; %bb.45:                               ;   in Loop: Header=BB0_3 Depth=1
	v_mov_b64_e32 v[22:23], 0
	s_mov_b64 s[0:1], 0
	s_mov_b32 s13, 0
	s_mov_b64 s[4:5], 0
.LBB0_46:                               ;   Parent Loop BB0_3 Depth=1
                                        ; =>  This Inner Loop Header: Depth=2
	s_delay_alu instid0(SALU_CYCLE_1) | instskip(SKIP_1) | instid1(SALU_CYCLE_1)
	v_add_nc_u64_e32 v[26:27], s[4:5], v[24:25]
	s_add_nc_u64 s[4:5], s[4:5], 1
	v_cmp_eq_u32_e32 vcc_lo, s4, v7
	global_load_u8 v10, v[26:27], off
	s_wait_xcnt 0x0
	v_mov_b32_e32 v27, s7
	s_or_b32 s13, vcc_lo, s13
	s_wait_loadcnt 0x0
	v_and_b32_e32 v26, 0xffff, v10
	s_delay_alu instid0(VALU_DEP_1) | instskip(SKIP_1) | instid1(VALU_DEP_1)
	v_lshlrev_b64_e32 v[26:27], s0, v[26:27]
	s_add_nc_u64 s[0:1], s[0:1], 8
	v_or_b32_e32 v23, v27, v23
	s_delay_alu instid0(VALU_DEP_2)
	v_or_b32_e32 v22, v26, v22
	s_and_not1_b32 exec_lo, exec_lo, s13
	s_cbranch_execnz .LBB0_46
; %bb.47:                               ;   in Loop: Header=BB0_3 Depth=1
	s_or_b32 exec_lo, exec_lo, s13
.LBB0_48:                               ;   in Loop: Header=BB0_3 Depth=1
	s_delay_alu instid0(SALU_CYCLE_1)
	s_or_b32 exec_lo, exec_lo, s12
	v_mov_b64_e32 v[26:27], v[24:25]
                                        ; implicit-def: $vgpr7
.LBB0_49:                               ;   in Loop: Header=BB0_3 Depth=1
	s_or_saveexec_b32 s0, s11
	v_mov_b32_e32 v10, 0
	s_xor_b32 exec_lo, exec_lo, s0
	s_cbranch_execz .LBB0_51
; %bb.50:                               ;   in Loop: Header=BB0_3 Depth=1
	global_load_b64 v[22:23], v[24:25], off
	v_add_nc_u32_e32 v10, -8, v7
.LBB0_51:                               ;   in Loop: Header=BB0_3 Depth=1
	s_wait_xcnt 0x0
	s_or_b32 exec_lo, exec_lo, s0
	s_delay_alu instid0(SALU_CYCLE_1) | instskip(NEXT) | instid1(VALU_DEP_1)
	s_mov_b32 s0, exec_lo
	v_cmpx_gt_u32_e32 8, v10
	s_xor_b32 s4, exec_lo, s0
	s_cbranch_execz .LBB0_57
; %bb.52:                               ;   in Loop: Header=BB0_3 Depth=1
	v_mov_b64_e32 v[24:25], 0
	s_mov_b32 s5, exec_lo
	v_cmpx_ne_u32_e32 0, v10
	s_cbranch_execz .LBB0_56
; %bb.53:                               ;   in Loop: Header=BB0_3 Depth=1
	v_mov_b64_e32 v[24:25], 0
	s_mov_b64 s[0:1], 0
	s_mov_b32 s11, 0
.LBB0_54:                               ;   Parent Loop BB0_3 Depth=1
                                        ; =>  This Inner Loop Header: Depth=2
	global_load_u8 v7, v[26:27], off
	v_dual_mov_b32 v29, s7 :: v_dual_add_nc_u32 v10, -1, v10
	s_wait_xcnt 0x0
	v_add_nc_u64_e32 v[26:27], 1, v[26:27]
	s_delay_alu instid0(VALU_DEP_2) | instskip(SKIP_3) | instid1(VALU_DEP_1)
	v_cmp_eq_u32_e32 vcc_lo, 0, v10
	s_or_b32 s11, vcc_lo, s11
	s_wait_loadcnt 0x0
	v_and_b32_e32 v28, 0xffff, v7
	v_lshlrev_b64_e32 v[28:29], s0, v[28:29]
	s_add_nc_u64 s[0:1], s[0:1], 8
	s_delay_alu instid0(VALU_DEP_1) | instskip(NEXT) | instid1(VALU_DEP_2)
	v_or_b32_e32 v25, v29, v25
	v_or_b32_e32 v24, v28, v24
	s_and_not1_b32 exec_lo, exec_lo, s11
	s_cbranch_execnz .LBB0_54
; %bb.55:                               ;   in Loop: Header=BB0_3 Depth=1
	s_or_b32 exec_lo, exec_lo, s11
.LBB0_56:                               ;   in Loop: Header=BB0_3 Depth=1
	s_delay_alu instid0(SALU_CYCLE_1)
	s_or_b32 exec_lo, exec_lo, s5
                                        ; implicit-def: $vgpr26_vgpr27
.LBB0_57:                               ;   in Loop: Header=BB0_3 Depth=1
	s_and_not1_saveexec_b32 s0, s4
	s_cbranch_execz .LBB0_59
; %bb.58:                               ;   in Loop: Header=BB0_3 Depth=1
	global_load_b64 v[24:25], v[26:27], off
.LBB0_59:                               ;   in Loop: Header=BB0_3 Depth=1
	s_wait_xcnt 0x0
	s_or_b32 exec_lo, exec_lo, s0
	v_readfirstlane_b32 s0, v30
	v_mov_b64_e32 v[34:35], 0
	s_delay_alu instid0(VALU_DEP_2)
	v_cmp_eq_u32_e64 s0, s0, v30
	s_and_saveexec_b32 s1, s0
	s_cbranch_execz .LBB0_65
; %bb.60:                               ;   in Loop: Header=BB0_3 Depth=1
	s_wait_kmcnt 0x0
	global_load_b64 v[28:29], v11, s[2:3] offset:24 scope:SCOPE_SYS
	s_wait_loadcnt 0x0
	global_inv scope:SCOPE_SYS
	s_clause 0x1
	global_load_b64 v[26:27], v11, s[2:3] offset:40
	global_load_b64 v[34:35], v11, s[2:3]
	s_mov_b32 s4, exec_lo
	s_wait_loadcnt 0x1
	v_and_b32_e32 v26, v26, v28
	v_and_b32_e32 v27, v27, v29
	s_delay_alu instid0(VALU_DEP_1) | instskip(SKIP_1) | instid1(VALU_DEP_1)
	v_mul_u64_e32 v[26:27], 24, v[26:27]
	s_wait_loadcnt 0x0
	v_add_nc_u64_e32 v[26:27], v[34:35], v[26:27]
	global_load_b64 v[26:27], v[26:27], off scope:SCOPE_SYS
	s_wait_xcnt 0x0
	s_wait_loadcnt 0x0
	global_atomic_cmpswap_b64 v[34:35], v11, v[26:29], s[2:3] offset:24 th:TH_ATOMIC_RETURN scope:SCOPE_SYS
	s_wait_loadcnt 0x0
	global_inv scope:SCOPE_SYS
	s_wait_xcnt 0x0
	v_cmpx_ne_u64_e64 v[34:35], v[28:29]
	s_cbranch_execz .LBB0_64
; %bb.61:                               ;   in Loop: Header=BB0_3 Depth=1
	s_mov_b32 s5, 0
.LBB0_62:                               ;   Parent Loop BB0_3 Depth=1
                                        ; =>  This Inner Loop Header: Depth=2
	s_sleep 1
	s_clause 0x1
	global_load_b64 v[26:27], v11, s[2:3] offset:40
	global_load_b64 v[36:37], v11, s[2:3]
	v_mov_b64_e32 v[28:29], v[34:35]
	s_wait_loadcnt 0x1
	s_delay_alu instid0(VALU_DEP_1) | instskip(SKIP_1) | instid1(VALU_DEP_1)
	v_and_b32_e32 v7, v26, v28
	s_wait_loadcnt 0x0
	v_mad_nc_u64_u32 v[34:35], v7, 24, v[36:37]
	s_delay_alu instid0(VALU_DEP_3) | instskip(NEXT) | instid1(VALU_DEP_1)
	v_and_b32_e32 v7, v27, v29
	v_mad_u32 v35, v7, 24, v35
	global_load_b64 v[26:27], v[34:35], off scope:SCOPE_SYS
	s_wait_xcnt 0x0
	s_wait_loadcnt 0x0
	global_atomic_cmpswap_b64 v[34:35], v11, v[26:29], s[2:3] offset:24 th:TH_ATOMIC_RETURN scope:SCOPE_SYS
	s_wait_loadcnt 0x0
	global_inv scope:SCOPE_SYS
	v_cmp_eq_u64_e32 vcc_lo, v[34:35], v[28:29]
	s_or_b32 s5, vcc_lo, s5
	s_wait_xcnt 0x0
	s_and_not1_b32 exec_lo, exec_lo, s5
	s_cbranch_execnz .LBB0_62
; %bb.63:                               ;   in Loop: Header=BB0_3 Depth=1
	s_or_b32 exec_lo, exec_lo, s5
.LBB0_64:                               ;   in Loop: Header=BB0_3 Depth=1
	s_delay_alu instid0(SALU_CYCLE_1)
	s_or_b32 exec_lo, exec_lo, s4
.LBB0_65:                               ;   in Loop: Header=BB0_3 Depth=1
	s_delay_alu instid0(SALU_CYCLE_1)
	s_or_b32 exec_lo, exec_lo, s1
	s_wait_kmcnt 0x0
	s_clause 0x1
	global_load_b64 v[36:37], v11, s[2:3] offset:40
	global_load_b128 v[26:29], v11, s[2:3]
	v_readfirstlane_b32 s4, v34
	v_readfirstlane_b32 s5, v35
	s_mov_b32 s1, exec_lo
	s_wait_loadcnt 0x1
	v_and_b32_e32 v36, s4, v36
	v_and_b32_e32 v37, s5, v37
	s_delay_alu instid0(VALU_DEP_1) | instskip(SKIP_1) | instid1(VALU_DEP_1)
	v_mul_u64_e32 v[34:35], 24, v[36:37]
	s_wait_loadcnt 0x0
	v_add_nc_u64_e32 v[34:35], v[26:27], v[34:35]
	s_wait_xcnt 0x0
	s_and_saveexec_b32 s11, s0
	s_cbranch_execz .LBB0_67
; %bb.66:                               ;   in Loop: Header=BB0_3 Depth=1
	v_mov_b32_e32 v10, s1
	global_store_b128 v[34:35], v[10:13], off offset:8
.LBB0_67:                               ;   in Loop: Header=BB0_3 Depth=1
	s_wait_xcnt 0x0
	s_or_b32 exec_lo, exec_lo, s11
	v_cmp_gt_u64_e32 vcc_lo, 57, v[4:5]
	v_lshlrev_b64_e32 v[36:37], 12, v[36:37]
	v_and_b32_e32 v0, 0xffffff1f, v0
	v_lshl_add_u32 v31, v32, 2, 28
	v_lshlrev_b32_e32 v10, 6, v30
	v_cndmask_b32_e32 v7, 0, v6, vcc_lo
	v_add_nc_u64_e32 v[28:29], v[28:29], v[36:37]
	s_delay_alu instid0(VALU_DEP_2) | instskip(NEXT) | instid1(VALU_DEP_2)
	v_or_b32_e32 v0, v0, v7
	v_readfirstlane_b32 s12, v28
	s_delay_alu instid0(VALU_DEP_3) | instskip(NEXT) | instid1(VALU_DEP_3)
	v_readfirstlane_b32 s13, v29
	v_and_or_b32 v0, 0x1e0, v31, v0
	s_clause 0x3
	global_store_b128 v10, v[0:3], s[12:13]
	global_store_b128 v10, v[14:17], s[12:13] offset:16
	global_store_b128 v10, v[18:21], s[12:13] offset:32
	;; [unrolled: 1-line block ×3, first 2 shown]
	s_wait_xcnt 0x0
	s_and_saveexec_b32 s1, s0
	s_cbranch_execz .LBB0_75
; %bb.68:                               ;   in Loop: Header=BB0_3 Depth=1
	s_clause 0x1
	global_load_b64 v[18:19], v11, s[2:3] offset:32 scope:SCOPE_SYS
	global_load_b64 v[0:1], v11, s[2:3] offset:40
	s_mov_b32 s11, exec_lo
	v_dual_mov_b32 v16, s4 :: v_dual_mov_b32 v17, s5
	s_wait_loadcnt 0x0
	v_and_b32_e32 v1, s5, v1
	v_and_b32_e32 v0, s4, v0
	s_delay_alu instid0(VALU_DEP_1) | instskip(NEXT) | instid1(VALU_DEP_1)
	v_mul_u64_e32 v[0:1], 24, v[0:1]
	v_add_nc_u64_e32 v[14:15], v[26:27], v[0:1]
	global_store_b64 v[14:15], v[18:19], off
	global_wb scope:SCOPE_SYS
	s_wait_storecnt 0x0
	s_wait_xcnt 0x0
	global_atomic_cmpswap_b64 v[2:3], v11, v[16:19], s[2:3] offset:32 th:TH_ATOMIC_RETURN scope:SCOPE_SYS
	s_wait_loadcnt 0x0
	v_cmpx_ne_u64_e64 v[2:3], v[18:19]
	s_cbranch_execz .LBB0_71
; %bb.69:                               ;   in Loop: Header=BB0_3 Depth=1
	s_mov_b32 s12, 0
.LBB0_70:                               ;   Parent Loop BB0_3 Depth=1
                                        ; =>  This Inner Loop Header: Depth=2
	v_dual_mov_b32 v0, s4 :: v_dual_mov_b32 v1, s5
	s_sleep 1
	global_store_b64 v[14:15], v[2:3], off
	global_wb scope:SCOPE_SYS
	s_wait_storecnt 0x0
	s_wait_xcnt 0x0
	global_atomic_cmpswap_b64 v[0:1], v11, v[0:3], s[2:3] offset:32 th:TH_ATOMIC_RETURN scope:SCOPE_SYS
	s_wait_loadcnt 0x0
	v_cmp_eq_u64_e32 vcc_lo, v[0:1], v[2:3]
	v_mov_b64_e32 v[2:3], v[0:1]
	s_or_b32 s12, vcc_lo, s12
	s_delay_alu instid0(SALU_CYCLE_1)
	s_and_not1_b32 exec_lo, exec_lo, s12
	s_cbranch_execnz .LBB0_70
.LBB0_71:                               ;   in Loop: Header=BB0_3 Depth=1
	s_or_b32 exec_lo, exec_lo, s11
	global_load_b64 v[0:1], v11, s[2:3] offset:16
	s_mov_b32 s12, exec_lo
	s_mov_b32 s11, exec_lo
	v_mbcnt_lo_u32_b32 v2, s12, 0
	s_wait_xcnt 0x0
	s_delay_alu instid0(VALU_DEP_1)
	v_cmpx_eq_u32_e32 0, v2
	s_cbranch_execz .LBB0_73
; %bb.72:                               ;   in Loop: Header=BB0_3 Depth=1
	s_bcnt1_i32_b32 s12, s12
	s_delay_alu instid0(SALU_CYCLE_1)
	v_dual_mov_b32 v3, v11 :: v_dual_mov_b32 v2, s12
	global_wb scope:SCOPE_SYS
	s_wait_loadcnt 0x0
	s_wait_storecnt 0x0
	global_atomic_add_u64 v[0:1], v[2:3], off offset:8 scope:SCOPE_SYS
.LBB0_73:                               ;   in Loop: Header=BB0_3 Depth=1
	s_wait_xcnt 0x0
	s_or_b32 exec_lo, exec_lo, s11
	s_wait_loadcnt 0x0
	global_load_b64 v[2:3], v[0:1], off offset:16
	s_wait_loadcnt 0x0
	v_cmp_eq_u64_e32 vcc_lo, 0, v[2:3]
	s_cbranch_vccnz .LBB0_75
; %bb.74:                               ;   in Loop: Header=BB0_3 Depth=1
	global_load_b32 v0, v[0:1], off offset:24
	s_wait_xcnt 0x0
	v_mov_b32_e32 v1, v11
	s_wait_loadcnt 0x0
	v_readfirstlane_b32 s11, v0
	global_wb scope:SCOPE_SYS
	s_wait_storecnt 0x0
	global_store_b64 v[2:3], v[0:1], off scope:SCOPE_SYS
	s_and_b32 m0, s11, 0xffffff
	s_sendmsg sendmsg(MSG_INTERRUPT)
.LBB0_75:                               ;   in Loop: Header=BB0_3 Depth=1
	s_wait_xcnt 0x0
	s_or_b32 exec_lo, exec_lo, s1
	v_add_nc_u64_e32 v[0:1], v[28:29], v[10:11]
	s_branch .LBB0_79
.LBB0_76:                               ;   in Loop: Header=BB0_79 Depth=2
	s_wait_xcnt 0x0
	s_or_b32 exec_lo, exec_lo, s1
	s_delay_alu instid0(VALU_DEP_1)
	v_readfirstlane_b32 s1, v2
	s_cmp_eq_u32 s1, 0
	s_cbranch_scc1 .LBB0_78
; %bb.77:                               ;   in Loop: Header=BB0_79 Depth=2
	s_sleep 1
	s_cbranch_execnz .LBB0_79
	s_branch .LBB0_81
.LBB0_78:                               ;   in Loop: Header=BB0_3 Depth=1
	s_branch .LBB0_81
.LBB0_79:                               ;   Parent Loop BB0_3 Depth=1
                                        ; =>  This Inner Loop Header: Depth=2
	v_mov_b32_e32 v2, 1
	s_and_saveexec_b32 s1, s0
	s_cbranch_execz .LBB0_76
; %bb.80:                               ;   in Loop: Header=BB0_79 Depth=2
	global_load_b32 v2, v[34:35], off offset:20 scope:SCOPE_SYS
	s_wait_loadcnt 0x0
	global_inv scope:SCOPE_SYS
	v_and_b32_e32 v2, 1, v2
	s_branch .LBB0_76
.LBB0_81:                               ;   in Loop: Header=BB0_3 Depth=1
	global_load_b128 v[0:3], v[0:1], off
	s_wait_xcnt 0x0
	s_and_saveexec_b32 s11, s0
	s_cbranch_execz .LBB0_2
; %bb.82:                               ;   in Loop: Header=BB0_3 Depth=1
	s_wait_loadcnt 0x0
	s_clause 0x2
	global_load_b64 v[2:3], v11, s[2:3] offset:40
	global_load_b64 v[18:19], v11, s[2:3] offset:24 scope:SCOPE_SYS
	global_load_b64 v[14:15], v11, s[2:3]
	s_wait_loadcnt 0x2
	v_readfirstlane_b32 s12, v2
	v_readfirstlane_b32 s13, v3
	s_add_nc_u64 s[0:1], s[12:13], 1
	s_delay_alu instid0(SALU_CYCLE_1) | instskip(NEXT) | instid1(SALU_CYCLE_1)
	s_add_nc_u64 s[4:5], s[0:1], s[4:5]
	s_cmp_eq_u64 s[4:5], 0
	s_cselect_b32 s1, s1, s5
	s_cselect_b32 s0, s0, s4
	s_delay_alu instid0(SALU_CYCLE_1) | instskip(SKIP_1) | instid1(SALU_CYCLE_1)
	v_dual_mov_b32 v17, s1 :: v_dual_mov_b32 v16, s0
	s_and_b64 s[4:5], s[0:1], s[12:13]
	s_mul_u64 s[4:5], s[4:5], 24
	s_wait_loadcnt 0x0
	v_add_nc_u64_e32 v[2:3], s[4:5], v[14:15]
	global_store_b64 v[2:3], v[18:19], off
	global_wb scope:SCOPE_SYS
	s_wait_storecnt 0x0
	s_wait_xcnt 0x0
	global_atomic_cmpswap_b64 v[16:17], v11, v[16:19], s[2:3] offset:24 th:TH_ATOMIC_RETURN scope:SCOPE_SYS
	s_wait_loadcnt 0x0
	v_cmp_ne_u64_e32 vcc_lo, v[16:17], v[18:19]
	s_and_b32 exec_lo, exec_lo, vcc_lo
	s_cbranch_execz .LBB0_2
; %bb.83:                               ;   in Loop: Header=BB0_3 Depth=1
	s_mov_b32 s4, 0
.LBB0_84:                               ;   Parent Loop BB0_3 Depth=1
                                        ; =>  This Inner Loop Header: Depth=2
	v_dual_mov_b32 v14, s0 :: v_dual_mov_b32 v15, s1
	s_sleep 1
	global_store_b64 v[2:3], v[16:17], off
	global_wb scope:SCOPE_SYS
	s_wait_storecnt 0x0
	s_wait_xcnt 0x0
	global_atomic_cmpswap_b64 v[14:15], v11, v[14:17], s[2:3] offset:24 th:TH_ATOMIC_RETURN scope:SCOPE_SYS
	s_wait_loadcnt 0x0
	v_cmp_eq_u64_e32 vcc_lo, v[14:15], v[16:17]
	v_mov_b64_e32 v[16:17], v[14:15]
	s_or_b32 s4, vcc_lo, s4
	s_delay_alu instid0(SALU_CYCLE_1)
	s_and_not1_b32 exec_lo, exec_lo, s4
	s_cbranch_execnz .LBB0_84
	s_branch .LBB0_2
.LBB0_85:
	s_or_b32 exec_lo, exec_lo, s10
                                        ; implicit-def: $vgpr0
                                        ; implicit-def: $vgpr30
                                        ; implicit-def: $vgpr1
.LBB0_86:
	s_and_not1_saveexec_b32 s6, s6
	s_cbranch_execz .LBB0_108
; %bb.87:
	s_load_b64 s[2:3], s[8:9], 0x50
	v_readfirstlane_b32 s0, v30
	v_mov_b64_e32 v[8:9], 0
	s_delay_alu instid0(VALU_DEP_2)
	v_cmp_eq_u32_e64 s0, s0, v30
	s_and_saveexec_b32 s1, s0
	s_cbranch_execz .LBB0_93
; %bb.88:
	s_wait_loadcnt 0x0
	v_mov_b32_e32 v2, 0
	s_mov_b32 s4, exec_lo
	s_wait_kmcnt 0x0
	global_load_b64 v[6:7], v2, s[2:3] offset:24 scope:SCOPE_SYS
	s_wait_loadcnt 0x0
	global_inv scope:SCOPE_SYS
	s_clause 0x1
	global_load_b64 v[4:5], v2, s[2:3] offset:40
	global_load_b64 v[8:9], v2, s[2:3]
	s_wait_loadcnt 0x1
	v_and_b32_e32 v4, v4, v6
	v_and_b32_e32 v5, v5, v7
	s_delay_alu instid0(VALU_DEP_1) | instskip(SKIP_1) | instid1(VALU_DEP_1)
	v_mul_u64_e32 v[4:5], 24, v[4:5]
	s_wait_loadcnt 0x0
	v_add_nc_u64_e32 v[4:5], v[8:9], v[4:5]
	global_load_b64 v[4:5], v[4:5], off scope:SCOPE_SYS
	s_wait_xcnt 0x0
	s_wait_loadcnt 0x0
	global_atomic_cmpswap_b64 v[8:9], v2, v[4:7], s[2:3] offset:24 th:TH_ATOMIC_RETURN scope:SCOPE_SYS
	s_wait_loadcnt 0x0
	global_inv scope:SCOPE_SYS
	s_wait_xcnt 0x0
	v_cmpx_ne_u64_e64 v[8:9], v[6:7]
	s_cbranch_execz .LBB0_92
; %bb.89:
	s_mov_b32 s5, 0
.LBB0_90:                               ; =>This Inner Loop Header: Depth=1
	s_sleep 1
	s_clause 0x1
	global_load_b64 v[4:5], v2, s[2:3] offset:40
	global_load_b64 v[10:11], v2, s[2:3]
	v_mov_b64_e32 v[6:7], v[8:9]
	s_wait_loadcnt 0x1
	s_delay_alu instid0(VALU_DEP_1) | instskip(SKIP_1) | instid1(VALU_DEP_1)
	v_and_b32_e32 v3, v4, v6
	s_wait_loadcnt 0x0
	v_mad_nc_u64_u32 v[8:9], v3, 24, v[10:11]
	s_delay_alu instid0(VALU_DEP_3) | instskip(NEXT) | instid1(VALU_DEP_1)
	v_and_b32_e32 v3, v5, v7
	v_mad_u32 v9, v3, 24, v9
	global_load_b64 v[4:5], v[8:9], off scope:SCOPE_SYS
	s_wait_xcnt 0x0
	s_wait_loadcnt 0x0
	global_atomic_cmpswap_b64 v[8:9], v2, v[4:7], s[2:3] offset:24 th:TH_ATOMIC_RETURN scope:SCOPE_SYS
	s_wait_loadcnt 0x0
	global_inv scope:SCOPE_SYS
	v_cmp_eq_u64_e32 vcc_lo, v[8:9], v[6:7]
	s_or_b32 s5, vcc_lo, s5
	s_wait_xcnt 0x0
	s_and_not1_b32 exec_lo, exec_lo, s5
	s_cbranch_execnz .LBB0_90
; %bb.91:
	s_or_b32 exec_lo, exec_lo, s5
.LBB0_92:
	s_delay_alu instid0(SALU_CYCLE_1)
	s_or_b32 exec_lo, exec_lo, s4
.LBB0_93:
	s_delay_alu instid0(SALU_CYCLE_1)
	s_or_b32 exec_lo, exec_lo, s1
	v_readfirstlane_b32 s4, v8
	s_wait_loadcnt 0x0
	v_mov_b32_e32 v2, 0
	v_readfirstlane_b32 s5, v9
	s_mov_b32 s1, exec_lo
	s_wait_kmcnt 0x0
	s_clause 0x1
	global_load_b64 v[10:11], v2, s[2:3] offset:40
	global_load_b128 v[4:7], v2, s[2:3]
	s_wait_loadcnt 0x1
	v_and_b32_e32 v10, s4, v10
	v_and_b32_e32 v11, s5, v11
	s_delay_alu instid0(VALU_DEP_1) | instskip(SKIP_1) | instid1(VALU_DEP_1)
	v_mul_u64_e32 v[8:9], 24, v[10:11]
	s_wait_loadcnt 0x0
	v_add_nc_u64_e32 v[8:9], v[4:5], v[8:9]
	s_wait_xcnt 0x0
	s_and_saveexec_b32 s7, s0
	s_cbranch_execz .LBB0_95
; %bb.94:
	v_mov_b64_e32 v[14:15], 0x100000002
	v_dual_mov_b32 v12, s1 :: v_dual_mov_b32 v13, v2
	global_store_b128 v[8:9], v[12:15], off offset:8
.LBB0_95:
	s_wait_xcnt 0x0
	s_or_b32 exec_lo, exec_lo, s7
	v_lshlrev_b64_e32 v[10:11], 12, v[10:11]
	s_mov_b32 s8, 0
	v_and_or_b32 v0, 0xffffff1f, v0, 32
	s_mov_b32 s10, s8
	s_mov_b32 s11, s8
	s_mov_b32 s9, s8
	v_dual_mov_b32 v3, v2 :: v_dual_lshlrev_b32 v14, 6, v30
	v_add_nc_u64_e32 v[6:7], v[6:7], v[10:11]
	v_mov_b64_e32 v[12:13], s[10:11]
	v_mov_b64_e32 v[10:11], s[8:9]
	s_delay_alu instid0(VALU_DEP_3) | instskip(NEXT) | instid1(VALU_DEP_4)
	v_readfirstlane_b32 s12, v6
	v_readfirstlane_b32 s13, v7
	s_clause 0x3
	global_store_b128 v14, v[0:3], s[12:13]
	global_store_b128 v14, v[10:13], s[12:13] offset:16
	global_store_b128 v14, v[10:13], s[12:13] offset:32
	;; [unrolled: 1-line block ×3, first 2 shown]
	s_wait_xcnt 0x0
	s_and_saveexec_b32 s1, s0
	s_cbranch_execz .LBB0_102
; %bb.96:
	v_dual_mov_b32 v6, 0 :: v_dual_mov_b32 v11, s5
	s_mov_b32 s7, exec_lo
	s_clause 0x1
	global_load_b64 v[12:13], v6, s[2:3] offset:32 scope:SCOPE_SYS
	global_load_b64 v[0:1], v6, s[2:3] offset:40
	s_wait_loadcnt 0x0
	v_dual_mov_b32 v10, s4 :: v_dual_bitop2_b32 v1, s5, v1 bitop3:0x40
	v_and_b32_e32 v0, s4, v0
	s_delay_alu instid0(VALU_DEP_1) | instskip(NEXT) | instid1(VALU_DEP_1)
	v_mul_u64_e32 v[0:1], 24, v[0:1]
	v_add_nc_u64_e32 v[4:5], v[4:5], v[0:1]
	global_store_b64 v[4:5], v[12:13], off
	global_wb scope:SCOPE_SYS
	s_wait_storecnt 0x0
	s_wait_xcnt 0x0
	global_atomic_cmpswap_b64 v[2:3], v6, v[10:13], s[2:3] offset:32 th:TH_ATOMIC_RETURN scope:SCOPE_SYS
	s_wait_loadcnt 0x0
	v_cmpx_ne_u64_e64 v[2:3], v[12:13]
	s_cbranch_execz .LBB0_98
.LBB0_97:                               ; =>This Inner Loop Header: Depth=1
	v_dual_mov_b32 v0, s4 :: v_dual_mov_b32 v1, s5
	s_sleep 1
	global_store_b64 v[4:5], v[2:3], off
	global_wb scope:SCOPE_SYS
	s_wait_storecnt 0x0
	s_wait_xcnt 0x0
	global_atomic_cmpswap_b64 v[0:1], v6, v[0:3], s[2:3] offset:32 th:TH_ATOMIC_RETURN scope:SCOPE_SYS
	s_wait_loadcnt 0x0
	v_cmp_eq_u64_e32 vcc_lo, v[0:1], v[2:3]
	v_mov_b64_e32 v[2:3], v[0:1]
	s_or_b32 s8, vcc_lo, s8
	s_delay_alu instid0(SALU_CYCLE_1)
	s_and_not1_b32 exec_lo, exec_lo, s8
	s_cbranch_execnz .LBB0_97
.LBB0_98:
	s_or_b32 exec_lo, exec_lo, s7
	v_mov_b32_e32 v3, 0
	s_mov_b32 s8, exec_lo
	s_mov_b32 s7, exec_lo
	v_mbcnt_lo_u32_b32 v2, s8, 0
	global_load_b64 v[0:1], v3, s[2:3] offset:16
	s_wait_xcnt 0x0
	v_cmpx_eq_u32_e32 0, v2
	s_cbranch_execz .LBB0_100
; %bb.99:
	s_bcnt1_i32_b32 s8, s8
	s_delay_alu instid0(SALU_CYCLE_1)
	v_mov_b32_e32 v2, s8
	global_wb scope:SCOPE_SYS
	s_wait_loadcnt 0x0
	s_wait_storecnt 0x0
	global_atomic_add_u64 v[0:1], v[2:3], off offset:8 scope:SCOPE_SYS
.LBB0_100:
	s_wait_xcnt 0x0
	s_or_b32 exec_lo, exec_lo, s7
	s_wait_loadcnt 0x0
	global_load_b64 v[2:3], v[0:1], off offset:16
	s_wait_loadcnt 0x0
	v_cmp_eq_u64_e32 vcc_lo, 0, v[2:3]
	s_cbranch_vccnz .LBB0_102
; %bb.101:
	global_load_b32 v0, v[0:1], off offset:24
	s_wait_xcnt 0x0
	v_mov_b32_e32 v1, 0
	s_wait_loadcnt 0x0
	v_readfirstlane_b32 s7, v0
	global_wb scope:SCOPE_SYS
	s_wait_storecnt 0x0
	global_store_b64 v[2:3], v[0:1], off scope:SCOPE_SYS
	s_and_b32 m0, s7, 0xffffff
	s_sendmsg sendmsg(MSG_INTERRUPT)
.LBB0_102:
	s_wait_xcnt 0x0
	s_or_b32 exec_lo, exec_lo, s1
	s_branch .LBB0_106
.LBB0_103:                              ;   in Loop: Header=BB0_106 Depth=1
	s_wait_xcnt 0x0
	s_or_b32 exec_lo, exec_lo, s1
	s_delay_alu instid0(VALU_DEP_1)
	v_readfirstlane_b32 s1, v0
	s_cmp_eq_u32 s1, 0
	s_cbranch_scc1 .LBB0_105
; %bb.104:                              ;   in Loop: Header=BB0_106 Depth=1
	s_sleep 1
	s_cbranch_execnz .LBB0_106
	s_branch .LBB0_109
.LBB0_105:
	s_branch .LBB0_109
.LBB0_106:                              ; =>This Inner Loop Header: Depth=1
	v_mov_b32_e32 v0, 1
	s_and_saveexec_b32 s1, s0
	s_cbranch_execz .LBB0_103
; %bb.107:                              ;   in Loop: Header=BB0_106 Depth=1
	global_load_b32 v0, v[8:9], off offset:20 scope:SCOPE_SYS
	s_wait_loadcnt 0x0
	global_inv scope:SCOPE_SYS
	v_and_b32_e32 v0, 1, v0
	s_branch .LBB0_103
.LBB0_108:
	s_or_b32 exec_lo, exec_lo, s6
	s_wait_loadcnt 0x0
	s_wait_kmcnt 0x0
	s_set_pc_i64 s[30:31]
.LBB0_109:
	s_and_saveexec_b32 s7, s0
	s_cbranch_execz .LBB0_113
; %bb.110:
	v_mov_b32_e32 v6, 0
	s_clause 0x2
	global_load_b64 v[0:1], v6, s[2:3] offset:40
	global_load_b64 v[10:11], v6, s[2:3] offset:24 scope:SCOPE_SYS
	global_load_b64 v[2:3], v6, s[2:3]
	s_wait_loadcnt 0x2
	v_readfirstlane_b32 s8, v0
	v_readfirstlane_b32 s9, v1
	s_add_nc_u64 s[0:1], s[8:9], 1
	s_delay_alu instid0(SALU_CYCLE_1) | instskip(NEXT) | instid1(SALU_CYCLE_1)
	s_add_nc_u64 s[4:5], s[0:1], s[4:5]
	s_cmp_eq_u64 s[4:5], 0
	s_cselect_b32 s1, s1, s5
	s_cselect_b32 s0, s0, s4
	v_mov_b32_e32 v9, s1
	s_and_b64 s[4:5], s[0:1], s[8:9]
	v_mov_b32_e32 v8, s0
	s_mul_u64 s[4:5], s[4:5], 24
	s_wait_loadcnt 0x0
	v_add_nc_u64_e32 v[4:5], s[4:5], v[2:3]
	global_store_b64 v[4:5], v[10:11], off
	global_wb scope:SCOPE_SYS
	s_wait_storecnt 0x0
	s_wait_xcnt 0x0
	global_atomic_cmpswap_b64 v[2:3], v6, v[8:11], s[2:3] offset:24 th:TH_ATOMIC_RETURN scope:SCOPE_SYS
	s_wait_loadcnt 0x0
	v_cmp_ne_u64_e32 vcc_lo, v[2:3], v[10:11]
	s_and_b32 exec_lo, exec_lo, vcc_lo
	s_cbranch_execz .LBB0_113
; %bb.111:
	s_mov_b32 s4, 0
.LBB0_112:                              ; =>This Inner Loop Header: Depth=1
	v_dual_mov_b32 v0, s0 :: v_dual_mov_b32 v1, s1
	s_sleep 1
	global_store_b64 v[4:5], v[2:3], off
	global_wb scope:SCOPE_SYS
	s_wait_storecnt 0x0
	s_wait_xcnt 0x0
	global_atomic_cmpswap_b64 v[0:1], v6, v[0:3], s[2:3] offset:24 th:TH_ATOMIC_RETURN scope:SCOPE_SYS
	s_wait_loadcnt 0x0
	v_cmp_eq_u64_e32 vcc_lo, v[0:1], v[2:3]
	v_mov_b64_e32 v[2:3], v[0:1]
	s_or_b32 s4, vcc_lo, s4
	s_delay_alu instid0(SALU_CYCLE_1)
	s_and_not1_b32 exec_lo, exec_lo, s4
	s_cbranch_execnz .LBB0_112
.LBB0_113:
	s_or_b32 exec_lo, exec_lo, s7
	s_delay_alu instid0(SALU_CYCLE_1)
	s_or_b32 exec_lo, exec_lo, s6
	s_wait_loadcnt 0x0
	s_wait_kmcnt 0x0
	s_set_pc_i64 s[30:31]
.Lfunc_end0:
	.size	__ockl_fprintf_append_string_n, .Lfunc_end0-__ockl_fprintf_append_string_n
                                        ; -- End function
	.set .L__ockl_fprintf_append_string_n.num_vgpr, 38
	.set .L__ockl_fprintf_append_string_n.num_agpr, 0
	.set .L__ockl_fprintf_append_string_n.numbered_sgpr, 32
	.set .L__ockl_fprintf_append_string_n.num_named_barrier, 0
	.set .L__ockl_fprintf_append_string_n.private_seg_size, 0
	.set .L__ockl_fprintf_append_string_n.uses_vcc, 1
	.set .L__ockl_fprintf_append_string_n.uses_flat_scratch, 0
	.set .L__ockl_fprintf_append_string_n.has_dyn_sized_stack, 0
	.set .L__ockl_fprintf_append_string_n.has_recursion, 0
	.set .L__ockl_fprintf_append_string_n.has_indirect_call, 0
	.section	.AMDGPU.csdata,"",@progbits
; Function info:
; codeLenInByte = 4324
; TotalNumSgprs: 34
; NumVgprs: 38
; ScratchSize: 0
; MemoryBound: 0
	.text
	.p2align	2                               ; -- Begin function __assert_fail
	.type	__assert_fail,@function
__assert_fail:                          ; @__assert_fail
; %bb.0:
	s_wait_loadcnt_dscnt 0x0
	s_wait_kmcnt 0x0
	s_mov_b32 s16, s33
	s_mov_b32 s33, s32
	s_or_saveexec_b32 s0, -1
	scratch_store_b32 off, v40, s33 offset:48 ; 4-byte Folded Spill
	s_wait_xcnt 0x0
	s_mov_b32 exec_lo, s0
	v_writelane_b32 v40, s30, 0
	s_add_co_i32 s32, s32, 64
	v_writelane_b32 v40, s31, 1
	v_dual_mov_b32 v37, v6 :: v_dual_mov_b32 v36, v5
	v_mov_b32_e32 v5, 0
	s_get_pc_i64 s[0:1]
	s_add_nc_u64 s[0:1], s[0:1], __const.__assert_fail.fmt@rel64+35
	s_get_pc_i64 s[10:11]
	s_add_nc_u64 s[10:11], s[10:11], __const.__assert_fail.fmt@rel64+20
	v_mbcnt_lo_u32_b32 v54, -1, 0
	v_dual_mov_b32 v7, v1 :: v_dual_mov_b32 v6, v0
	global_load_b128 v[8:11], v5, s[0:1]
	s_wait_xcnt 0x0
	s_get_pc_i64 s[0:1]
	s_add_nc_u64 s[0:1], s[0:1], __const.__assert_fail.fmt@rel64+4
	s_clause 0x1
	s_load_b128 s[4:7], s[0:1], 0x0
	s_load_b128 s[12:15], s[10:11], 0x0
	s_load_b64 s[2:3], s[8:9], 0x50
	s_wait_xcnt 0x0
	v_readfirstlane_b32 s0, v54
	v_mov_b64_e32 v[0:1], 0
	s_delay_alu instid0(VALU_DEP_2)
	v_cmp_eq_u32_e64 s0, s0, v54
	s_wait_kmcnt 0x0
	v_mov_b64_e32 v[14:15], s[6:7]
	v_mov_b64_e32 v[12:13], s[4:5]
	;; [unrolled: 1-line block ×4, first 2 shown]
	s_clause 0x1
	scratch_store_b128 off, v[12:15], s33
	scratch_store_b128 off, v[16:19], s33 offset:16
	s_wait_loadcnt 0x0
	scratch_store_b128 off, v[8:11], s33 offset:31
	s_wait_xcnt 0x0
	s_and_saveexec_b32 s1, s0
	s_cbranch_execz .LBB1_6
; %bb.1:
	global_load_b64 v[10:11], v5, s[2:3] offset:24 scope:SCOPE_SYS
	s_wait_loadcnt 0x0
	global_inv scope:SCOPE_SYS
	s_clause 0x1
	global_load_b64 v[0:1], v5, s[2:3] offset:40
	global_load_b64 v[8:9], v5, s[2:3]
	s_mov_b32 s4, exec_lo
	s_wait_loadcnt 0x1
	v_and_b32_e32 v0, v0, v10
	v_and_b32_e32 v1, v1, v11
	s_delay_alu instid0(VALU_DEP_1) | instskip(SKIP_1) | instid1(VALU_DEP_1)
	v_mul_u64_e32 v[0:1], 24, v[0:1]
	s_wait_loadcnt 0x0
	v_add_nc_u64_e32 v[0:1], v[8:9], v[0:1]
	global_load_b64 v[8:9], v[0:1], off scope:SCOPE_SYS
	s_wait_xcnt 0x0
	s_wait_loadcnt 0x0
	global_atomic_cmpswap_b64 v[0:1], v5, v[8:11], s[2:3] offset:24 th:TH_ATOMIC_RETURN scope:SCOPE_SYS
	s_wait_loadcnt 0x0
	global_inv scope:SCOPE_SYS
	s_wait_xcnt 0x0
	v_cmpx_ne_u64_e64 v[0:1], v[10:11]
	s_cbranch_execz .LBB1_5
; %bb.2:
	v_mov_b32_e32 v8, 0
	s_mov_b32 s5, 0
.LBB1_3:                                ; =>This Inner Loop Header: Depth=1
	s_sleep 1
	s_clause 0x1
	global_load_b64 v[10:11], v8, s[2:3] offset:40
	global_load_b64 v[14:15], v8, s[2:3]
	v_mov_b64_e32 v[12:13], v[0:1]
	s_wait_loadcnt 0x1
	s_delay_alu instid0(VALU_DEP_1) | instskip(NEXT) | instid1(VALU_DEP_2)
	v_and_b32_e32 v0, v10, v12
	v_and_b32_e32 v9, v11, v13
	s_wait_loadcnt 0x0
	s_delay_alu instid0(VALU_DEP_2) | instskip(NEXT) | instid1(VALU_DEP_1)
	v_mad_nc_u64_u32 v[0:1], v0, 24, v[14:15]
	v_mad_u32 v1, v9, 24, v1
	global_load_b64 v[10:11], v[0:1], off scope:SCOPE_SYS
	s_wait_xcnt 0x0
	s_wait_loadcnt 0x0
	global_atomic_cmpswap_b64 v[0:1], v8, v[10:13], s[2:3] offset:24 th:TH_ATOMIC_RETURN scope:SCOPE_SYS
	s_wait_loadcnt 0x0
	global_inv scope:SCOPE_SYS
	v_cmp_eq_u64_e32 vcc_lo, v[0:1], v[12:13]
	s_or_b32 s5, vcc_lo, s5
	s_wait_xcnt 0x0
	s_and_not1_b32 exec_lo, exec_lo, s5
	s_cbranch_execnz .LBB1_3
; %bb.4:
	s_or_b32 exec_lo, exec_lo, s5
.LBB1_5:
	s_delay_alu instid0(SALU_CYCLE_1)
	s_or_b32 exec_lo, exec_lo, s4
.LBB1_6:
	s_delay_alu instid0(SALU_CYCLE_1)
	s_or_b32 exec_lo, exec_lo, s1
	s_clause 0x1
	global_load_b64 v[12:13], v5, s[2:3] offset:40
	global_load_b128 v[8:11], v5, s[2:3]
	v_readfirstlane_b32 s4, v0
	v_readfirstlane_b32 s5, v1
	s_mov_b32 s1, exec_lo
	s_wait_loadcnt 0x1
	v_and_b32_e32 v12, s4, v12
	v_and_b32_e32 v13, s5, v13
	s_delay_alu instid0(VALU_DEP_1) | instskip(SKIP_1) | instid1(VALU_DEP_1)
	v_mul_u64_e32 v[0:1], 24, v[12:13]
	s_wait_loadcnt 0x0
	v_add_nc_u64_e32 v[0:1], v[8:9], v[0:1]
	s_wait_xcnt 0x0
	s_and_saveexec_b32 s6, s0
	s_cbranch_execz .LBB1_8
; %bb.7:
	v_mov_b64_e32 v[16:17], 0x100000002
	v_dual_mov_b32 v14, s1 :: v_dual_mov_b32 v15, 0
	global_store_b128 v[0:1], v[14:17], off offset:8
.LBB1_8:
	s_wait_xcnt 0x0
	s_or_b32 exec_lo, exec_lo, s6
	v_lshlrev_b64_e32 v[12:13], 12, v[12:13]
	s_mov_b32 s12, 0
	v_dual_mov_b32 v35, 0 :: v_dual_lshlrev_b32 v34, 6, v54
	s_mov_b32 s14, s12
	s_mov_b32 s15, s12
	;; [unrolled: 1-line block ×3, first 2 shown]
	s_delay_alu instid0(VALU_DEP_2)
	v_add_nc_u64_e32 v[12:13], v[10:11], v[12:13]
	v_mov_b64_e32 v[20:21], s[14:15]
	v_mov_b64_e32 v[18:19], s[12:13]
	v_dual_mov_b32 v14, 33 :: v_dual_mov_b32 v16, 1
	v_dual_mov_b32 v15, v35 :: v_dual_mov_b32 v17, v35
	v_readfirstlane_b32 s6, v12
	v_readfirstlane_b32 s7, v13
	s_clause 0x3
	global_store_b128 v34, v[14:17], s[6:7]
	global_store_b128 v34, v[18:21], s[6:7] offset:16
	global_store_b128 v34, v[18:21], s[6:7] offset:32
	;; [unrolled: 1-line block ×3, first 2 shown]
	s_wait_xcnt 0x0
	s_and_saveexec_b32 s1, s0
	s_cbranch_execz .LBB1_16
; %bb.9:
	s_clause 0x1
	global_load_b64 v[18:19], v35, s[2:3] offset:32 scope:SCOPE_SYS
	global_load_b64 v[10:11], v35, s[2:3] offset:40
	s_mov_b32 s6, exec_lo
	v_dual_mov_b32 v16, s4 :: v_dual_mov_b32 v17, s5
	s_wait_loadcnt 0x0
	v_and_b32_e32 v11, s5, v11
	v_and_b32_e32 v10, s4, v10
	s_delay_alu instid0(VALU_DEP_1) | instskip(NEXT) | instid1(VALU_DEP_1)
	v_mul_u64_e32 v[10:11], 24, v[10:11]
	v_add_nc_u64_e32 v[14:15], v[8:9], v[10:11]
	global_store_b64 v[14:15], v[18:19], off
	global_wb scope:SCOPE_SYS
	s_wait_storecnt 0x0
	s_wait_xcnt 0x0
	global_atomic_cmpswap_b64 v[10:11], v35, v[16:19], s[2:3] offset:32 th:TH_ATOMIC_RETURN scope:SCOPE_SYS
	s_wait_loadcnt 0x0
	v_cmpx_ne_u64_e64 v[10:11], v[18:19]
	s_cbranch_execz .LBB1_12
; %bb.10:
	v_mov_b32_e32 v5, 0
	s_mov_b32 s7, 0
.LBB1_11:                               ; =>This Inner Loop Header: Depth=1
	v_dual_mov_b32 v8, s4 :: v_dual_mov_b32 v9, s5
	s_sleep 1
	global_store_b64 v[14:15], v[10:11], off
	global_wb scope:SCOPE_SYS
	s_wait_storecnt 0x0
	s_wait_xcnt 0x0
	global_atomic_cmpswap_b64 v[8:9], v5, v[8:11], s[2:3] offset:32 th:TH_ATOMIC_RETURN scope:SCOPE_SYS
	s_wait_loadcnt 0x0
	v_cmp_eq_u64_e32 vcc_lo, v[8:9], v[10:11]
	v_mov_b64_e32 v[10:11], v[8:9]
	s_or_b32 s7, vcc_lo, s7
	s_delay_alu instid0(SALU_CYCLE_1)
	s_and_not1_b32 exec_lo, exec_lo, s7
	s_cbranch_execnz .LBB1_11
.LBB1_12:
	s_or_b32 exec_lo, exec_lo, s6
	v_mov_b32_e32 v11, 0
	s_mov_b32 s7, exec_lo
	s_mov_b32 s6, exec_lo
	v_mbcnt_lo_u32_b32 v5, s7, 0
	global_load_b64 v[8:9], v11, s[2:3] offset:16
	s_wait_xcnt 0x0
	v_cmpx_eq_u32_e32 0, v5
	s_cbranch_execz .LBB1_14
; %bb.13:
	s_bcnt1_i32_b32 s7, s7
	s_delay_alu instid0(SALU_CYCLE_1)
	v_mov_b32_e32 v10, s7
	global_wb scope:SCOPE_SYS
	s_wait_loadcnt 0x0
	s_wait_storecnt 0x0
	global_atomic_add_u64 v[8:9], v[10:11], off offset:8 scope:SCOPE_SYS
.LBB1_14:
	s_wait_xcnt 0x0
	s_or_b32 exec_lo, exec_lo, s6
	s_wait_loadcnt 0x0
	global_load_b64 v[10:11], v[8:9], off offset:16
	s_wait_loadcnt 0x0
	v_cmp_eq_u64_e32 vcc_lo, 0, v[10:11]
	s_cbranch_vccnz .LBB1_16
; %bb.15:
	global_load_b32 v8, v[8:9], off offset:24
	s_wait_xcnt 0x0
	v_mov_b32_e32 v9, 0
	s_wait_loadcnt 0x0
	v_readfirstlane_b32 s6, v8
	global_wb scope:SCOPE_SYS
	s_wait_storecnt 0x0
	global_store_b64 v[10:11], v[8:9], off scope:SCOPE_SYS
	s_and_b32 m0, s6, 0xffffff
	s_sendmsg sendmsg(MSG_INTERRUPT)
.LBB1_16:
	s_wait_xcnt 0x0
	s_or_b32 exec_lo, exec_lo, s1
	v_add_nc_u64_e32 v[8:9], v[12:13], v[34:35]
	s_branch .LBB1_20
.LBB1_17:                               ;   in Loop: Header=BB1_20 Depth=1
	s_wait_xcnt 0x0
	s_or_b32 exec_lo, exec_lo, s1
	s_delay_alu instid0(VALU_DEP_1)
	v_readfirstlane_b32 s1, v5
	s_cmp_eq_u32 s1, 0
	s_cbranch_scc1 .LBB1_19
; %bb.18:                               ;   in Loop: Header=BB1_20 Depth=1
	s_sleep 1
	s_cbranch_execnz .LBB1_20
	s_branch .LBB1_22
.LBB1_19:
	s_branch .LBB1_22
.LBB1_20:                               ; =>This Inner Loop Header: Depth=1
	v_mov_b32_e32 v5, 1
	s_and_saveexec_b32 s1, s0
	s_cbranch_execz .LBB1_17
; %bb.21:                               ;   in Loop: Header=BB1_20 Depth=1
	global_load_b32 v5, v[0:1], off offset:20 scope:SCOPE_SYS
	s_wait_loadcnt 0x0
	global_inv scope:SCOPE_SYS
	v_and_b32_e32 v5, 1, v5
	s_branch .LBB1_17
.LBB1_22:
	global_load_b64 v[12:13], v[8:9], off
	s_wait_xcnt 0x0
	s_and_saveexec_b32 s6, s0
	s_cbranch_execz .LBB1_26
; %bb.23:
	v_mov_b32_e32 v5, 0
	s_clause 0x2
	global_load_b64 v[0:1], v5, s[2:3] offset:40
	global_load_b64 v[16:17], v5, s[2:3] offset:24 scope:SCOPE_SYS
	global_load_b64 v[8:9], v5, s[2:3]
	s_wait_loadcnt 0x2
	v_readfirstlane_b32 s10, v0
	v_readfirstlane_b32 s11, v1
	s_add_nc_u64 s[0:1], s[10:11], 1
	s_delay_alu instid0(SALU_CYCLE_1) | instskip(NEXT) | instid1(SALU_CYCLE_1)
	s_add_nc_u64 s[4:5], s[0:1], s[4:5]
	s_cmp_eq_u64 s[4:5], 0
	s_cselect_b32 s1, s1, s5
	s_cselect_b32 s0, s0, s4
	v_mov_b32_e32 v15, s1
	s_and_b64 s[4:5], s[0:1], s[10:11]
	v_mov_b32_e32 v14, s0
	s_mul_u64 s[4:5], s[4:5], 24
	s_wait_loadcnt 0x0
	v_add_nc_u64_e32 v[0:1], s[4:5], v[8:9]
	global_store_b64 v[0:1], v[16:17], off
	global_wb scope:SCOPE_SYS
	s_wait_storecnt 0x0
	s_wait_xcnt 0x0
	global_atomic_cmpswap_b64 v[10:11], v5, v[14:17], s[2:3] offset:24 th:TH_ATOMIC_RETURN scope:SCOPE_SYS
	s_wait_loadcnt 0x0
	v_cmp_ne_u64_e32 vcc_lo, v[10:11], v[16:17]
	s_and_b32 exec_lo, exec_lo, vcc_lo
	s_cbranch_execz .LBB1_26
; %bb.24:
	s_mov_b32 s4, 0
.LBB1_25:                               ; =>This Inner Loop Header: Depth=1
	v_dual_mov_b32 v8, s0 :: v_dual_mov_b32 v9, s1
	s_sleep 1
	global_store_b64 v[0:1], v[10:11], off
	global_wb scope:SCOPE_SYS
	s_wait_storecnt 0x0
	s_wait_xcnt 0x0
	global_atomic_cmpswap_b64 v[8:9], v5, v[8:11], s[2:3] offset:24 th:TH_ATOMIC_RETURN scope:SCOPE_SYS
	s_wait_loadcnt 0x0
	v_cmp_eq_u64_e32 vcc_lo, v[8:9], v[10:11]
	v_mov_b64_e32 v[10:11], v[8:9]
	s_or_b32 s4, vcc_lo, s4
	s_delay_alu instid0(SALU_CYCLE_1)
	s_and_not1_b32 exec_lo, exec_lo, s4
	s_cbranch_execnz .LBB1_25
.LBB1_26:
	s_or_b32 exec_lo, exec_lo, s6
	s_mov_b32 s1, s33
	s_mov_b32 s0, 0
.LBB1_27:                               ; =>This Inner Loop Header: Depth=1
	scratch_load_u8 v0, off, s1
	s_wait_xcnt 0x0
	s_add_co_i32 s1, s1, 1
	s_wait_loadcnt 0x0
	v_cmp_eq_u16_e32 vcc_lo, 0, v0
	v_mov_b32_e32 v0, s1
	s_or_b32 s0, vcc_lo, s0
	s_delay_alu instid0(SALU_CYCLE_1)
	s_and_not1_b32 exec_lo, exec_lo, s0
	s_cbranch_execnz .LBB1_27
; %bb.28:
	s_or_b32 exec_lo, exec_lo, s0
	s_cmp_lg_u32 s33, -1
	s_cbranch_scc0 .LBB1_113
; %bb.29:
	s_mov_b64 s[0:1], src_flat_scratch_base_lo
	v_mov_b64_e32 v[16:17], 0x100000002
	v_dual_add_nc_u32 v1, s0, v0 :: v_dual_mov_b32 v35, 0
	s_add_co_i32 s0, s33, s0
	v_dual_mov_b32 v9, v13 :: v_dual_bitop2_b32 v0, 2, v12 bitop3:0x40
	s_delay_alu instid0(VALU_DEP_2) | instskip(SKIP_3) | instid1(VALU_DEP_2)
	v_subrev_nc_u32_e32 v38, s0, v1
	v_dual_mov_b32 v1, s33 :: v_dual_bitop2_b32 v8, -3, v12 bitop3:0x40
	s_mov_b32 s7, 0
	s_mov_b32 s6, 0
	v_ashrrev_i32_e32 v39, 31, v38
	s_branch .LBB1_31
.LBB1_30:                               ;   in Loop: Header=BB1_31 Depth=1
	s_or_b32 exec_lo, exec_lo, s10
	v_sub_nc_u64_e32 v[38:39], v[38:39], v[48:49]
	v_add_nc_u32_e32 v1, v1, v48
	s_delay_alu instid0(VALU_DEP_2) | instskip(SKIP_1) | instid1(SALU_CYCLE_1)
	v_cmp_eq_u64_e32 vcc_lo, 0, v[38:39]
	s_or_b32 s6, vcc_lo, s6
	s_and_not1_b32 exec_lo, exec_lo, s6
	s_cbranch_execz .LBB1_114
.LBB1_31:                               ; =>This Loop Header: Depth=1
                                        ;     Child Loop BB1_34 Depth 2
                                        ;     Child Loop BB1_42 Depth 2
	;; [unrolled: 1-line block ×11, first 2 shown]
	s_delay_alu instid0(VALU_DEP_1)
	v_min_u64 v[48:49], v[38:39], 56
	v_add_nc_u32_e32 v14, 8, v1
	s_mov_b32 s0, exec_lo
	v_cmpx_gt_u64_e32 8, v[38:39]
	s_xor_b32 s4, exec_lo, s0
	s_cbranch_execz .LBB1_37
; %bb.32:                               ;   in Loop: Header=BB1_31 Depth=1
	v_mov_b64_e32 v[10:11], 0
	s_mov_b32 s5, exec_lo
	v_cmpx_ne_u64_e32 0, v[38:39]
	s_cbranch_execz .LBB1_36
; %bb.33:                               ;   in Loop: Header=BB1_31 Depth=1
	v_mov_b64_e32 v[10:11], 0
	v_dual_mov_b32 v5, v1 :: v_dual_lshlrev_b32 v14, 3, v48
	s_mov_b64 s[0:1], 0
	s_mov_b32 s10, 0
.LBB1_34:                               ;   Parent Loop BB1_31 Depth=1
                                        ; =>  This Inner Loop Header: Depth=2
	scratch_load_u8 v15, v5, off
	s_wait_xcnt 0x0
	v_dual_mov_b32 v19, s7 :: v_dual_add_nc_u32 v5, 1, v5
	s_wait_loadcnt 0x0
	v_and_b32_e32 v18, 0xffff, v15
	s_delay_alu instid0(VALU_DEP_1) | instskip(SKIP_1) | instid1(SALU_CYCLE_1)
	v_lshlrev_b64_e32 v[18:19], s0, v[18:19]
	s_add_nc_u64 s[0:1], s[0:1], 8
	v_cmp_eq_u32_e32 vcc_lo, s0, v14
	s_delay_alu instid0(VALU_DEP_2) | instskip(NEXT) | instid1(VALU_DEP_3)
	v_or_b32_e32 v11, v19, v11
	v_or_b32_e32 v10, v18, v10
	s_or_b32 s10, vcc_lo, s10
	s_delay_alu instid0(SALU_CYCLE_1)
	s_and_not1_b32 exec_lo, exec_lo, s10
	s_cbranch_execnz .LBB1_34
; %bb.35:                               ;   in Loop: Header=BB1_31 Depth=1
	s_or_b32 exec_lo, exec_lo, s10
.LBB1_36:                               ;   in Loop: Header=BB1_31 Depth=1
	s_delay_alu instid0(SALU_CYCLE_1)
	s_or_b32 exec_lo, exec_lo, s5
	v_mov_b32_e32 v14, v1
.LBB1_37:                               ;   in Loop: Header=BB1_31 Depth=1
	s_or_saveexec_b32 s0, s4
	v_mov_b32_e32 v15, 0
	s_xor_b32 exec_lo, exec_lo, s0
	s_cbranch_execz .LBB1_39
; %bb.38:                               ;   in Loop: Header=BB1_31 Depth=1
	scratch_load_b64 v[10:11], v1, off
	v_add_nc_u32_e32 v15, -8, v48
.LBB1_39:                               ;   in Loop: Header=BB1_31 Depth=1
	s_wait_xcnt 0x0
	s_or_b32 exec_lo, exec_lo, s0
	v_add_nc_u32_e32 v5, 8, v14
                                        ; implicit-def: $vgpr18_vgpr19
	s_mov_b32 s0, exec_lo
	v_cmpx_gt_u32_e32 8, v15
	s_xor_b32 s4, exec_lo, s0
	s_cbranch_execz .LBB1_45
; %bb.40:                               ;   in Loop: Header=BB1_31 Depth=1
	v_mov_b64_e32 v[18:19], 0
	s_mov_b32 s5, exec_lo
	v_cmpx_ne_u32_e32 0, v15
	s_cbranch_execz .LBB1_44
; %bb.41:                               ;   in Loop: Header=BB1_31 Depth=1
	v_mov_b64_e32 v[18:19], 0
	s_mov_b64 s[0:1], 0
	s_mov_b32 s10, 0
	s_mov_b32 s11, 0
.LBB1_42:                               ;   Parent Loop BB1_31 Depth=1
                                        ; =>  This Inner Loop Header: Depth=2
	scratch_load_u8 v5, v14, s11
	v_mov_b32_e32 v21, s7
	s_wait_xcnt 0x0
	s_add_co_i32 s11, s11, 1
	s_delay_alu instid0(SALU_CYCLE_1) | instskip(SKIP_3) | instid1(VALU_DEP_1)
	v_cmp_eq_u32_e32 vcc_lo, s11, v15
	s_or_b32 s10, vcc_lo, s10
	s_wait_loadcnt 0x0
	v_and_b32_e32 v20, 0xffff, v5
	v_lshlrev_b64_e32 v[20:21], s0, v[20:21]
	s_add_nc_u64 s[0:1], s[0:1], 8
	s_delay_alu instid0(VALU_DEP_1) | instskip(NEXT) | instid1(VALU_DEP_2)
	v_or_b32_e32 v19, v21, v19
	v_or_b32_e32 v18, v20, v18
	s_and_not1_b32 exec_lo, exec_lo, s10
	s_cbranch_execnz .LBB1_42
; %bb.43:                               ;   in Loop: Header=BB1_31 Depth=1
	s_or_b32 exec_lo, exec_lo, s10
.LBB1_44:                               ;   in Loop: Header=BB1_31 Depth=1
	s_delay_alu instid0(SALU_CYCLE_1)
	s_or_b32 exec_lo, exec_lo, s5
	v_mov_b32_e32 v5, v14
                                        ; implicit-def: $vgpr15
.LBB1_45:                               ;   in Loop: Header=BB1_31 Depth=1
	s_or_saveexec_b32 s0, s4
	v_mov_b32_e32 v22, 0
	s_xor_b32 exec_lo, exec_lo, s0
	s_cbranch_execz .LBB1_47
; %bb.46:                               ;   in Loop: Header=BB1_31 Depth=1
	scratch_load_b64 v[18:19], v14, off
	v_add_nc_u32_e32 v22, -8, v15
.LBB1_47:                               ;   in Loop: Header=BB1_31 Depth=1
	s_wait_xcnt 0x0
	s_or_b32 exec_lo, exec_lo, s0
	v_add_nc_u32_e32 v14, 8, v5
	s_mov_b32 s0, exec_lo
	v_cmpx_gt_u32_e32 8, v22
	s_xor_b32 s4, exec_lo, s0
	s_cbranch_execz .LBB1_53
; %bb.48:                               ;   in Loop: Header=BB1_31 Depth=1
	v_mov_b64_e32 v[20:21], 0
	s_mov_b32 s5, exec_lo
	v_cmpx_ne_u32_e32 0, v22
	s_cbranch_execz .LBB1_52
; %bb.49:                               ;   in Loop: Header=BB1_31 Depth=1
	v_mov_b64_e32 v[20:21], 0
	s_mov_b64 s[0:1], 0
	s_mov_b32 s10, 0
	s_mov_b32 s11, 0
.LBB1_50:                               ;   Parent Loop BB1_31 Depth=1
                                        ; =>  This Inner Loop Header: Depth=2
	scratch_load_u8 v14, v5, s11
	v_mov_b32_e32 v15, s7
	s_wait_xcnt 0x0
	s_add_co_i32 s11, s11, 1
	s_delay_alu instid0(SALU_CYCLE_1) | instskip(SKIP_3) | instid1(VALU_DEP_1)
	v_cmp_eq_u32_e32 vcc_lo, s11, v22
	s_or_b32 s10, vcc_lo, s10
	s_wait_loadcnt 0x0
	v_and_b32_e32 v14, 0xffff, v14
	v_lshlrev_b64_e32 v[14:15], s0, v[14:15]
	s_add_nc_u64 s[0:1], s[0:1], 8
	s_delay_alu instid0(VALU_DEP_1) | instskip(NEXT) | instid1(VALU_DEP_2)
	v_or_b32_e32 v21, v15, v21
	v_or_b32_e32 v20, v14, v20
	s_and_not1_b32 exec_lo, exec_lo, s10
	s_cbranch_execnz .LBB1_50
; %bb.51:                               ;   in Loop: Header=BB1_31 Depth=1
	s_or_b32 exec_lo, exec_lo, s10
.LBB1_52:                               ;   in Loop: Header=BB1_31 Depth=1
	s_delay_alu instid0(SALU_CYCLE_1)
	s_or_b32 exec_lo, exec_lo, s5
	v_mov_b32_e32 v14, v5
                                        ; implicit-def: $vgpr22
.LBB1_53:                               ;   in Loop: Header=BB1_31 Depth=1
	s_or_saveexec_b32 s0, s4
	v_mov_b32_e32 v15, 0
	s_xor_b32 exec_lo, exec_lo, s0
	s_cbranch_execz .LBB1_55
; %bb.54:                               ;   in Loop: Header=BB1_31 Depth=1
	scratch_load_b64 v[20:21], v5, off
	v_add_nc_u32_e32 v15, -8, v22
.LBB1_55:                               ;   in Loop: Header=BB1_31 Depth=1
	s_wait_xcnt 0x0
	s_or_b32 exec_lo, exec_lo, s0
	v_add_nc_u32_e32 v5, 8, v14
                                        ; implicit-def: $vgpr22_vgpr23
	s_mov_b32 s0, exec_lo
	v_cmpx_gt_u32_e32 8, v15
	s_xor_b32 s4, exec_lo, s0
	s_cbranch_execz .LBB1_61
; %bb.56:                               ;   in Loop: Header=BB1_31 Depth=1
	v_mov_b64_e32 v[22:23], 0
	s_mov_b32 s5, exec_lo
	v_cmpx_ne_u32_e32 0, v15
	s_cbranch_execz .LBB1_60
; %bb.57:                               ;   in Loop: Header=BB1_31 Depth=1
	v_mov_b64_e32 v[22:23], 0
	s_mov_b64 s[0:1], 0
	s_mov_b32 s10, 0
	s_mov_b32 s11, 0
.LBB1_58:                               ;   Parent Loop BB1_31 Depth=1
                                        ; =>  This Inner Loop Header: Depth=2
	scratch_load_u8 v5, v14, s11
	v_mov_b32_e32 v25, s7
	s_wait_xcnt 0x0
	s_add_co_i32 s11, s11, 1
	s_delay_alu instid0(SALU_CYCLE_1) | instskip(SKIP_3) | instid1(VALU_DEP_1)
	v_cmp_eq_u32_e32 vcc_lo, s11, v15
	s_or_b32 s10, vcc_lo, s10
	s_wait_loadcnt 0x0
	v_and_b32_e32 v24, 0xffff, v5
	v_lshlrev_b64_e32 v[24:25], s0, v[24:25]
	s_add_nc_u64 s[0:1], s[0:1], 8
	s_delay_alu instid0(VALU_DEP_1) | instskip(NEXT) | instid1(VALU_DEP_2)
	v_or_b32_e32 v23, v25, v23
	v_or_b32_e32 v22, v24, v22
	s_and_not1_b32 exec_lo, exec_lo, s10
	s_cbranch_execnz .LBB1_58
; %bb.59:                               ;   in Loop: Header=BB1_31 Depth=1
	s_or_b32 exec_lo, exec_lo, s10
.LBB1_60:                               ;   in Loop: Header=BB1_31 Depth=1
	s_delay_alu instid0(SALU_CYCLE_1)
	s_or_b32 exec_lo, exec_lo, s5
	v_mov_b32_e32 v5, v14
                                        ; implicit-def: $vgpr15
.LBB1_61:                               ;   in Loop: Header=BB1_31 Depth=1
	s_or_saveexec_b32 s0, s4
	v_mov_b32_e32 v26, 0
	s_xor_b32 exec_lo, exec_lo, s0
	s_cbranch_execz .LBB1_63
; %bb.62:                               ;   in Loop: Header=BB1_31 Depth=1
	scratch_load_b64 v[22:23], v14, off
	v_add_nc_u32_e32 v26, -8, v15
.LBB1_63:                               ;   in Loop: Header=BB1_31 Depth=1
	s_wait_xcnt 0x0
	s_or_b32 exec_lo, exec_lo, s0
	v_add_nc_u32_e32 v14, 8, v5
	s_mov_b32 s0, exec_lo
	v_cmpx_gt_u32_e32 8, v26
	s_xor_b32 s4, exec_lo, s0
	s_cbranch_execz .LBB1_69
; %bb.64:                               ;   in Loop: Header=BB1_31 Depth=1
	v_mov_b64_e32 v[24:25], 0
	s_mov_b32 s5, exec_lo
	v_cmpx_ne_u32_e32 0, v26
	s_cbranch_execz .LBB1_68
; %bb.65:                               ;   in Loop: Header=BB1_31 Depth=1
	v_mov_b64_e32 v[24:25], 0
	s_mov_b64 s[0:1], 0
	s_mov_b32 s10, 0
	s_mov_b32 s11, 0
.LBB1_66:                               ;   Parent Loop BB1_31 Depth=1
                                        ; =>  This Inner Loop Header: Depth=2
	scratch_load_u8 v14, v5, s11
	v_mov_b32_e32 v15, s7
	s_wait_xcnt 0x0
	s_add_co_i32 s11, s11, 1
	s_delay_alu instid0(SALU_CYCLE_1) | instskip(SKIP_3) | instid1(VALU_DEP_1)
	v_cmp_eq_u32_e32 vcc_lo, s11, v26
	s_or_b32 s10, vcc_lo, s10
	s_wait_loadcnt 0x0
	v_and_b32_e32 v14, 0xffff, v14
	v_lshlrev_b64_e32 v[14:15], s0, v[14:15]
	s_add_nc_u64 s[0:1], s[0:1], 8
	s_delay_alu instid0(VALU_DEP_1) | instskip(NEXT) | instid1(VALU_DEP_2)
	v_or_b32_e32 v25, v15, v25
	v_or_b32_e32 v24, v14, v24
	s_and_not1_b32 exec_lo, exec_lo, s10
	s_cbranch_execnz .LBB1_66
; %bb.67:                               ;   in Loop: Header=BB1_31 Depth=1
	s_or_b32 exec_lo, exec_lo, s10
.LBB1_68:                               ;   in Loop: Header=BB1_31 Depth=1
	s_delay_alu instid0(SALU_CYCLE_1)
	s_or_b32 exec_lo, exec_lo, s5
	v_mov_b32_e32 v14, v5
                                        ; implicit-def: $vgpr26
.LBB1_69:                               ;   in Loop: Header=BB1_31 Depth=1
	s_or_saveexec_b32 s0, s4
	v_mov_b32_e32 v15, 0
	s_xor_b32 exec_lo, exec_lo, s0
	s_cbranch_execz .LBB1_71
; %bb.70:                               ;   in Loop: Header=BB1_31 Depth=1
	scratch_load_b64 v[24:25], v5, off
	v_add_nc_u32_e32 v15, -8, v26
.LBB1_71:                               ;   in Loop: Header=BB1_31 Depth=1
	s_wait_xcnt 0x0
	s_or_b32 exec_lo, exec_lo, s0
	v_add_nc_u32_e32 v5, 8, v14
                                        ; implicit-def: $vgpr26_vgpr27
	s_mov_b32 s0, exec_lo
	v_cmpx_gt_u32_e32 8, v15
	s_xor_b32 s4, exec_lo, s0
	s_cbranch_execz .LBB1_77
; %bb.72:                               ;   in Loop: Header=BB1_31 Depth=1
	v_mov_b64_e32 v[26:27], 0
	s_mov_b32 s5, exec_lo
	v_cmpx_ne_u32_e32 0, v15
	s_cbranch_execz .LBB1_76
; %bb.73:                               ;   in Loop: Header=BB1_31 Depth=1
	v_mov_b64_e32 v[26:27], 0
	s_mov_b64 s[0:1], 0
	s_mov_b32 s10, 0
	s_mov_b32 s11, 0
.LBB1_74:                               ;   Parent Loop BB1_31 Depth=1
                                        ; =>  This Inner Loop Header: Depth=2
	scratch_load_u8 v5, v14, s11
	v_mov_b32_e32 v29, s7
	s_wait_xcnt 0x0
	s_add_co_i32 s11, s11, 1
	s_delay_alu instid0(SALU_CYCLE_1) | instskip(SKIP_3) | instid1(VALU_DEP_1)
	v_cmp_eq_u32_e32 vcc_lo, s11, v15
	s_or_b32 s10, vcc_lo, s10
	s_wait_loadcnt 0x0
	v_and_b32_e32 v28, 0xffff, v5
	v_lshlrev_b64_e32 v[28:29], s0, v[28:29]
	s_add_nc_u64 s[0:1], s[0:1], 8
	s_delay_alu instid0(VALU_DEP_1) | instskip(NEXT) | instid1(VALU_DEP_2)
	v_or_b32_e32 v27, v29, v27
	v_or_b32_e32 v26, v28, v26
	s_and_not1_b32 exec_lo, exec_lo, s10
	s_cbranch_execnz .LBB1_74
; %bb.75:                               ;   in Loop: Header=BB1_31 Depth=1
	s_or_b32 exec_lo, exec_lo, s10
.LBB1_76:                               ;   in Loop: Header=BB1_31 Depth=1
	s_delay_alu instid0(SALU_CYCLE_1)
	s_or_b32 exec_lo, exec_lo, s5
	v_mov_b32_e32 v5, v14
                                        ; implicit-def: $vgpr15
.LBB1_77:                               ;   in Loop: Header=BB1_31 Depth=1
	s_or_saveexec_b32 s0, s4
	v_mov_b32_e32 v30, 0
	s_xor_b32 exec_lo, exec_lo, s0
	s_cbranch_execz .LBB1_79
; %bb.78:                               ;   in Loop: Header=BB1_31 Depth=1
	scratch_load_b64 v[26:27], v14, off
	v_add_nc_u32_e32 v30, -8, v15
.LBB1_79:                               ;   in Loop: Header=BB1_31 Depth=1
	s_wait_xcnt 0x0
	s_or_b32 exec_lo, exec_lo, s0
	s_delay_alu instid0(SALU_CYCLE_1) | instskip(NEXT) | instid1(VALU_DEP_1)
	s_mov_b32 s0, exec_lo
	v_cmpx_gt_u32_e32 8, v30
	s_xor_b32 s4, exec_lo, s0
	s_cbranch_execz .LBB1_85
; %bb.80:                               ;   in Loop: Header=BB1_31 Depth=1
	v_mov_b64_e32 v[28:29], 0
	s_mov_b32 s5, exec_lo
	v_cmpx_ne_u32_e32 0, v30
	s_cbranch_execz .LBB1_84
; %bb.81:                               ;   in Loop: Header=BB1_31 Depth=1
	v_mov_b64_e32 v[28:29], 0
	s_mov_b64 s[0:1], 0
	s_mov_b32 s10, 0
.LBB1_82:                               ;   Parent Loop BB1_31 Depth=1
                                        ; =>  This Inner Loop Header: Depth=2
	scratch_load_u8 v14, v5, off
	v_dual_mov_b32 v15, s7 :: v_dual_add_nc_u32 v30, -1, v30
	s_delay_alu instid0(VALU_DEP_1) | instskip(SKIP_3) | instid1(VALU_DEP_1)
	v_cmp_eq_u32_e32 vcc_lo, 0, v30
	s_or_b32 s10, vcc_lo, s10
	s_wait_loadcnt 0x0
	v_and_b32_e32 v14, 0xffff, v14
	v_lshlrev_b64_e32 v[14:15], s0, v[14:15]
	s_wait_xcnt 0x0
	v_add_nc_u32_e32 v5, 1, v5
	s_add_nc_u64 s[0:1], s[0:1], 8
	s_delay_alu instid0(VALU_DEP_2) | instskip(NEXT) | instid1(VALU_DEP_3)
	v_or_b32_e32 v29, v15, v29
	v_or_b32_e32 v28, v14, v28
	s_and_not1_b32 exec_lo, exec_lo, s10
	s_cbranch_execnz .LBB1_82
; %bb.83:                               ;   in Loop: Header=BB1_31 Depth=1
	s_or_b32 exec_lo, exec_lo, s10
.LBB1_84:                               ;   in Loop: Header=BB1_31 Depth=1
	s_delay_alu instid0(SALU_CYCLE_1)
	s_or_b32 exec_lo, exec_lo, s5
                                        ; implicit-def: $vgpr5
.LBB1_85:                               ;   in Loop: Header=BB1_31 Depth=1
	s_and_not1_saveexec_b32 s0, s4
	s_cbranch_execz .LBB1_87
; %bb.86:                               ;   in Loop: Header=BB1_31 Depth=1
	scratch_load_b64 v[28:29], v5, off
.LBB1_87:                               ;   in Loop: Header=BB1_31 Depth=1
	s_wait_xcnt 0x0
	s_or_b32 exec_lo, exec_lo, s0
	v_readfirstlane_b32 s0, v54
	v_mov_b64_e32 v[14:15], 0
	s_delay_alu instid0(VALU_DEP_2)
	v_cmp_eq_u32_e64 s0, s0, v54
	s_and_saveexec_b32 s1, s0
	s_cbranch_execz .LBB1_93
; %bb.88:                               ;   in Loop: Header=BB1_31 Depth=1
	global_load_b64 v[32:33], v35, s[2:3] offset:24 scope:SCOPE_SYS
	s_wait_loadcnt 0x0
	global_inv scope:SCOPE_SYS
	s_clause 0x1
	global_load_b64 v[14:15], v35, s[2:3] offset:40
	global_load_b64 v[30:31], v35, s[2:3]
	s_mov_b32 s4, exec_lo
	s_wait_loadcnt 0x1
	v_and_b32_e32 v14, v14, v32
	v_and_b32_e32 v15, v15, v33
	s_delay_alu instid0(VALU_DEP_1) | instskip(SKIP_1) | instid1(VALU_DEP_1)
	v_mul_u64_e32 v[14:15], 24, v[14:15]
	s_wait_loadcnt 0x0
	v_add_nc_u64_e32 v[14:15], v[30:31], v[14:15]
	global_load_b64 v[30:31], v[14:15], off scope:SCOPE_SYS
	s_wait_xcnt 0x0
	s_wait_loadcnt 0x0
	global_atomic_cmpswap_b64 v[14:15], v35, v[30:33], s[2:3] offset:24 th:TH_ATOMIC_RETURN scope:SCOPE_SYS
	s_wait_loadcnt 0x0
	global_inv scope:SCOPE_SYS
	s_wait_xcnt 0x0
	v_cmpx_ne_u64_e64 v[14:15], v[32:33]
	s_cbranch_execz .LBB1_92
; %bb.89:                               ;   in Loop: Header=BB1_31 Depth=1
	s_mov_b32 s5, 0
.LBB1_90:                               ;   Parent Loop BB1_31 Depth=1
                                        ; =>  This Inner Loop Header: Depth=2
	s_sleep 1
	s_clause 0x1
	global_load_b64 v[30:31], v35, s[2:3] offset:40
	global_load_b64 v[50:51], v35, s[2:3]
	v_mov_b64_e32 v[32:33], v[14:15]
	s_wait_loadcnt 0x1
	s_delay_alu instid0(VALU_DEP_1) | instskip(SKIP_1) | instid1(VALU_DEP_1)
	v_and_b32_e32 v5, v30, v32
	s_wait_loadcnt 0x0
	v_mad_nc_u64_u32 v[14:15], v5, 24, v[50:51]
	s_delay_alu instid0(VALU_DEP_3) | instskip(NEXT) | instid1(VALU_DEP_1)
	v_and_b32_e32 v5, v31, v33
	v_mad_u32 v15, v5, 24, v15
	global_load_b64 v[30:31], v[14:15], off scope:SCOPE_SYS
	s_wait_xcnt 0x0
	s_wait_loadcnt 0x0
	global_atomic_cmpswap_b64 v[14:15], v35, v[30:33], s[2:3] offset:24 th:TH_ATOMIC_RETURN scope:SCOPE_SYS
	s_wait_loadcnt 0x0
	global_inv scope:SCOPE_SYS
	v_cmp_eq_u64_e32 vcc_lo, v[14:15], v[32:33]
	s_or_b32 s5, vcc_lo, s5
	s_wait_xcnt 0x0
	s_and_not1_b32 exec_lo, exec_lo, s5
	s_cbranch_execnz .LBB1_90
; %bb.91:                               ;   in Loop: Header=BB1_31 Depth=1
	s_or_b32 exec_lo, exec_lo, s5
.LBB1_92:                               ;   in Loop: Header=BB1_31 Depth=1
	s_delay_alu instid0(SALU_CYCLE_1)
	s_or_b32 exec_lo, exec_lo, s4
.LBB1_93:                               ;   in Loop: Header=BB1_31 Depth=1
	s_delay_alu instid0(SALU_CYCLE_1)
	s_or_b32 exec_lo, exec_lo, s1
	s_clause 0x1
	global_load_b64 v[50:51], v35, s[2:3] offset:40
	global_load_b128 v[30:33], v35, s[2:3]
	v_readfirstlane_b32 s4, v14
	v_readfirstlane_b32 s5, v15
	s_mov_b32 s1, exec_lo
	s_wait_loadcnt 0x1
	v_and_b32_e32 v52, s4, v50
	v_and_b32_e32 v53, s5, v51
	s_delay_alu instid0(VALU_DEP_1) | instskip(SKIP_1) | instid1(VALU_DEP_1)
	v_mul_u64_e32 v[14:15], 24, v[52:53]
	s_wait_loadcnt 0x0
	v_add_nc_u64_e32 v[50:51], v[30:31], v[14:15]
	s_wait_xcnt 0x0
	s_and_saveexec_b32 s10, s0
	s_cbranch_execz .LBB1_95
; %bb.94:                               ;   in Loop: Header=BB1_31 Depth=1
	v_dual_mov_b32 v14, s1 :: v_dual_mov_b32 v15, v35
	global_store_b128 v[50:51], v[14:17], off offset:8
.LBB1_95:                               ;   in Loop: Header=BB1_31 Depth=1
	s_wait_xcnt 0x0
	s_or_b32 exec_lo, exec_lo, s10
	v_cmp_gt_u64_e32 vcc_lo, 57, v[38:39]
	v_lshlrev_b64_e32 v[14:15], 12, v[52:53]
	v_and_b32_e32 v8, 0xffffff1f, v8
	v_lshl_add_u32 v52, v48, 2, 28
	v_cndmask_b32_e32 v5, 0, v0, vcc_lo
	s_delay_alu instid0(VALU_DEP_4) | instskip(NEXT) | instid1(VALU_DEP_2)
	v_add_nc_u64_e32 v[14:15], v[32:33], v[14:15]
	v_or_b32_e32 v5, v8, v5
	s_delay_alu instid0(VALU_DEP_2) | instskip(NEXT) | instid1(VALU_DEP_3)
	v_readfirstlane_b32 s10, v14
	v_readfirstlane_b32 s11, v15
	s_delay_alu instid0(VALU_DEP_3)
	v_and_or_b32 v8, 0x1e0, v52, v5
	s_clause 0x3
	global_store_b128 v34, v[8:11], s[10:11]
	global_store_b128 v34, v[18:21], s[10:11] offset:16
	global_store_b128 v34, v[22:25], s[10:11] offset:32
	;; [unrolled: 1-line block ×3, first 2 shown]
	s_wait_xcnt 0x0
	s_and_saveexec_b32 s1, s0
	s_cbranch_execz .LBB1_103
; %bb.96:                               ;   in Loop: Header=BB1_31 Depth=1
	s_clause 0x1
	global_load_b64 v[22:23], v35, s[2:3] offset:32 scope:SCOPE_SYS
	global_load_b64 v[8:9], v35, s[2:3] offset:40
	s_mov_b32 s10, exec_lo
	v_dual_mov_b32 v20, s4 :: v_dual_mov_b32 v21, s5
	s_wait_loadcnt 0x0
	v_and_b32_e32 v9, s5, v9
	v_and_b32_e32 v8, s4, v8
	s_delay_alu instid0(VALU_DEP_1) | instskip(NEXT) | instid1(VALU_DEP_1)
	v_mul_u64_e32 v[8:9], 24, v[8:9]
	v_add_nc_u64_e32 v[18:19], v[30:31], v[8:9]
	global_store_b64 v[18:19], v[22:23], off
	global_wb scope:SCOPE_SYS
	s_wait_storecnt 0x0
	s_wait_xcnt 0x0
	global_atomic_cmpswap_b64 v[10:11], v35, v[20:23], s[2:3] offset:32 th:TH_ATOMIC_RETURN scope:SCOPE_SYS
	s_wait_loadcnt 0x0
	v_cmpx_ne_u64_e64 v[10:11], v[22:23]
	s_cbranch_execz .LBB1_99
; %bb.97:                               ;   in Loop: Header=BB1_31 Depth=1
	s_mov_b32 s11, 0
.LBB1_98:                               ;   Parent Loop BB1_31 Depth=1
                                        ; =>  This Inner Loop Header: Depth=2
	v_dual_mov_b32 v8, s4 :: v_dual_mov_b32 v9, s5
	s_sleep 1
	global_store_b64 v[18:19], v[10:11], off
	global_wb scope:SCOPE_SYS
	s_wait_storecnt 0x0
	s_wait_xcnt 0x0
	global_atomic_cmpswap_b64 v[8:9], v35, v[8:11], s[2:3] offset:32 th:TH_ATOMIC_RETURN scope:SCOPE_SYS
	s_wait_loadcnt 0x0
	v_cmp_eq_u64_e32 vcc_lo, v[8:9], v[10:11]
	v_mov_b64_e32 v[10:11], v[8:9]
	s_or_b32 s11, vcc_lo, s11
	s_delay_alu instid0(SALU_CYCLE_1)
	s_and_not1_b32 exec_lo, exec_lo, s11
	s_cbranch_execnz .LBB1_98
.LBB1_99:                               ;   in Loop: Header=BB1_31 Depth=1
	s_or_b32 exec_lo, exec_lo, s10
	global_load_b64 v[8:9], v35, s[2:3] offset:16
	s_mov_b32 s11, exec_lo
	s_mov_b32 s10, exec_lo
	v_mbcnt_lo_u32_b32 v5, s11, 0
	s_wait_xcnt 0x0
	s_delay_alu instid0(VALU_DEP_1)
	v_cmpx_eq_u32_e32 0, v5
	s_cbranch_execz .LBB1_101
; %bb.100:                              ;   in Loop: Header=BB1_31 Depth=1
	s_bcnt1_i32_b32 s11, s11
	s_delay_alu instid0(SALU_CYCLE_1)
	v_dual_mov_b32 v11, v35 :: v_dual_mov_b32 v10, s11
	global_wb scope:SCOPE_SYS
	s_wait_loadcnt 0x0
	s_wait_storecnt 0x0
	global_atomic_add_u64 v[8:9], v[10:11], off offset:8 scope:SCOPE_SYS
.LBB1_101:                              ;   in Loop: Header=BB1_31 Depth=1
	s_wait_xcnt 0x0
	s_or_b32 exec_lo, exec_lo, s10
	s_wait_loadcnt 0x0
	global_load_b64 v[10:11], v[8:9], off offset:16
	s_wait_loadcnt 0x0
	v_cmp_eq_u64_e32 vcc_lo, 0, v[10:11]
	s_cbranch_vccnz .LBB1_103
; %bb.102:                              ;   in Loop: Header=BB1_31 Depth=1
	global_load_b32 v8, v[8:9], off offset:24
	s_wait_xcnt 0x0
	v_mov_b32_e32 v9, v35
	s_wait_loadcnt 0x0
	v_readfirstlane_b32 s10, v8
	global_wb scope:SCOPE_SYS
	s_wait_storecnt 0x0
	global_store_b64 v[10:11], v[8:9], off scope:SCOPE_SYS
	s_and_b32 m0, s10, 0xffffff
	s_sendmsg sendmsg(MSG_INTERRUPT)
.LBB1_103:                              ;   in Loop: Header=BB1_31 Depth=1
	s_wait_xcnt 0x0
	s_or_b32 exec_lo, exec_lo, s1
	v_add_nc_u64_e32 v[8:9], v[14:15], v[34:35]
	s_branch .LBB1_107
.LBB1_104:                              ;   in Loop: Header=BB1_107 Depth=2
	s_wait_xcnt 0x0
	s_or_b32 exec_lo, exec_lo, s1
	s_delay_alu instid0(VALU_DEP_1)
	v_readfirstlane_b32 s1, v5
	s_cmp_eq_u32 s1, 0
	s_cbranch_scc1 .LBB1_106
; %bb.105:                              ;   in Loop: Header=BB1_107 Depth=2
	s_sleep 1
	s_cbranch_execnz .LBB1_107
	s_branch .LBB1_109
.LBB1_106:                              ;   in Loop: Header=BB1_31 Depth=1
	s_branch .LBB1_109
.LBB1_107:                              ;   Parent Loop BB1_31 Depth=1
                                        ; =>  This Inner Loop Header: Depth=2
	v_mov_b32_e32 v5, 1
	s_and_saveexec_b32 s1, s0
	s_cbranch_execz .LBB1_104
; %bb.108:                              ;   in Loop: Header=BB1_107 Depth=2
	global_load_b32 v5, v[50:51], off offset:20 scope:SCOPE_SYS
	s_wait_loadcnt 0x0
	global_inv scope:SCOPE_SYS
	v_and_b32_e32 v5, 1, v5
	s_branch .LBB1_104
.LBB1_109:                              ;   in Loop: Header=BB1_31 Depth=1
	global_load_b64 v[8:9], v[8:9], off
	s_wait_xcnt 0x0
	s_and_saveexec_b32 s10, s0
	s_cbranch_execz .LBB1_30
; %bb.110:                              ;   in Loop: Header=BB1_31 Depth=1
	s_clause 0x2
	global_load_b64 v[10:11], v35, s[2:3] offset:40
	global_load_b64 v[22:23], v35, s[2:3] offset:24 scope:SCOPE_SYS
	global_load_b64 v[14:15], v35, s[2:3]
	s_wait_loadcnt 0x2
	v_readfirstlane_b32 s12, v10
	v_readfirstlane_b32 s13, v11
	s_add_nc_u64 s[0:1], s[12:13], 1
	s_delay_alu instid0(SALU_CYCLE_1) | instskip(NEXT) | instid1(SALU_CYCLE_1)
	s_add_nc_u64 s[4:5], s[0:1], s[4:5]
	s_cmp_eq_u64 s[4:5], 0
	s_cselect_b32 s1, s1, s5
	s_cselect_b32 s0, s0, s4
	s_delay_alu instid0(SALU_CYCLE_1) | instskip(SKIP_1) | instid1(SALU_CYCLE_1)
	v_dual_mov_b32 v21, s1 :: v_dual_mov_b32 v20, s0
	s_and_b64 s[4:5], s[0:1], s[12:13]
	s_mul_u64 s[4:5], s[4:5], 24
	s_wait_loadcnt 0x0
	v_add_nc_u64_e32 v[10:11], s[4:5], v[14:15]
	global_store_b64 v[10:11], v[22:23], off
	global_wb scope:SCOPE_SYS
	s_wait_storecnt 0x0
	s_wait_xcnt 0x0
	global_atomic_cmpswap_b64 v[20:21], v35, v[20:23], s[2:3] offset:24 th:TH_ATOMIC_RETURN scope:SCOPE_SYS
	s_wait_loadcnt 0x0
	v_cmp_ne_u64_e32 vcc_lo, v[20:21], v[22:23]
	s_and_b32 exec_lo, exec_lo, vcc_lo
	s_cbranch_execz .LBB1_30
; %bb.111:                              ;   in Loop: Header=BB1_31 Depth=1
	s_mov_b32 s4, 0
.LBB1_112:                              ;   Parent Loop BB1_31 Depth=1
                                        ; =>  This Inner Loop Header: Depth=2
	v_dual_mov_b32 v18, s0 :: v_dual_mov_b32 v19, s1
	s_sleep 1
	global_store_b64 v[10:11], v[20:21], off
	global_wb scope:SCOPE_SYS
	s_wait_storecnt 0x0
	s_wait_xcnt 0x0
	global_atomic_cmpswap_b64 v[14:15], v35, v[18:21], s[2:3] offset:24 th:TH_ATOMIC_RETURN scope:SCOPE_SYS
	s_wait_loadcnt 0x0
	v_cmp_eq_u64_e32 vcc_lo, v[14:15], v[20:21]
	v_mov_b64_e32 v[20:21], v[14:15]
	s_or_b32 s4, vcc_lo, s4
	s_delay_alu instid0(SALU_CYCLE_1)
	s_and_not1_b32 exec_lo, exec_lo, s4
	s_cbranch_execnz .LBB1_112
	s_branch .LBB1_30
.LBB1_113:
                                        ; implicit-def: $vgpr8_vgpr9
	s_cbranch_execnz .LBB1_115
	s_branch .LBB1_142
.LBB1_114:
	s_or_b32 exec_lo, exec_lo, s6
	s_branch .LBB1_142
.LBB1_115:
	v_readfirstlane_b32 s0, v54
	v_mov_b64_e32 v[0:1], 0
	s_delay_alu instid0(VALU_DEP_2)
	v_cmp_eq_u32_e64 s0, s0, v54
	s_and_saveexec_b32 s1, s0
	s_cbranch_execz .LBB1_121
; %bb.116:
	v_mov_b32_e32 v5, 0
	s_mov_b32 s4, exec_lo
	global_load_b64 v[10:11], v5, s[2:3] offset:24 scope:SCOPE_SYS
	s_wait_loadcnt 0x0
	global_inv scope:SCOPE_SYS
	s_clause 0x1
	global_load_b64 v[0:1], v5, s[2:3] offset:40
	global_load_b64 v[8:9], v5, s[2:3]
	s_wait_loadcnt 0x1
	v_and_b32_e32 v0, v0, v10
	v_and_b32_e32 v1, v1, v11
	s_delay_alu instid0(VALU_DEP_1) | instskip(SKIP_1) | instid1(VALU_DEP_1)
	v_mul_u64_e32 v[0:1], 24, v[0:1]
	s_wait_loadcnt 0x0
	v_add_nc_u64_e32 v[0:1], v[8:9], v[0:1]
	global_load_b64 v[8:9], v[0:1], off scope:SCOPE_SYS
	s_wait_xcnt 0x0
	s_wait_loadcnt 0x0
	global_atomic_cmpswap_b64 v[0:1], v5, v[8:11], s[2:3] offset:24 th:TH_ATOMIC_RETURN scope:SCOPE_SYS
	s_wait_loadcnt 0x0
	global_inv scope:SCOPE_SYS
	s_wait_xcnt 0x0
	v_cmpx_ne_u64_e64 v[0:1], v[10:11]
	s_cbranch_execz .LBB1_120
; %bb.117:
	s_mov_b32 s5, 0
.LBB1_118:                              ; =>This Inner Loop Header: Depth=1
	s_sleep 1
	s_clause 0x1
	global_load_b64 v[8:9], v5, s[2:3] offset:40
	global_load_b64 v[14:15], v5, s[2:3]
	v_mov_b64_e32 v[10:11], v[0:1]
	s_wait_loadcnt 0x1
	s_delay_alu instid0(VALU_DEP_1) | instskip(NEXT) | instid1(VALU_DEP_2)
	v_and_b32_e32 v0, v8, v10
	v_and_b32_e32 v8, v9, v11
	s_wait_loadcnt 0x0
	s_delay_alu instid0(VALU_DEP_2) | instskip(NEXT) | instid1(VALU_DEP_1)
	v_mad_nc_u64_u32 v[0:1], v0, 24, v[14:15]
	v_mad_u32 v1, v8, 24, v1
	global_load_b64 v[8:9], v[0:1], off scope:SCOPE_SYS
	s_wait_xcnt 0x0
	s_wait_loadcnt 0x0
	global_atomic_cmpswap_b64 v[0:1], v5, v[8:11], s[2:3] offset:24 th:TH_ATOMIC_RETURN scope:SCOPE_SYS
	s_wait_loadcnt 0x0
	global_inv scope:SCOPE_SYS
	v_cmp_eq_u64_e32 vcc_lo, v[0:1], v[10:11]
	s_or_b32 s5, vcc_lo, s5
	s_wait_xcnt 0x0
	s_and_not1_b32 exec_lo, exec_lo, s5
	s_cbranch_execnz .LBB1_118
; %bb.119:
	s_or_b32 exec_lo, exec_lo, s5
.LBB1_120:
	s_delay_alu instid0(SALU_CYCLE_1)
	s_or_b32 exec_lo, exec_lo, s4
.LBB1_121:
	s_delay_alu instid0(SALU_CYCLE_1)
	s_or_b32 exec_lo, exec_lo, s1
	v_readfirstlane_b32 s4, v0
	v_mov_b32_e32 v35, 0
	v_readfirstlane_b32 s5, v1
	s_mov_b32 s1, exec_lo
	global_load_b64 v[14:15], v35, s[2:3] offset:40
	s_wait_loadcnt 0x1
	global_load_b128 v[8:11], v35, s[2:3]
	s_wait_loadcnt 0x1
	v_and_b32_e32 v14, s4, v14
	v_and_b32_e32 v15, s5, v15
	s_delay_alu instid0(VALU_DEP_1) | instskip(SKIP_1) | instid1(VALU_DEP_1)
	v_mul_u64_e32 v[0:1], 24, v[14:15]
	s_wait_loadcnt 0x0
	v_add_nc_u64_e32 v[0:1], v[8:9], v[0:1]
	s_wait_xcnt 0x0
	s_and_saveexec_b32 s6, s0
	s_cbranch_execz .LBB1_123
; %bb.122:
	v_mov_b64_e32 v[18:19], 0x100000002
	v_dual_mov_b32 v16, s1 :: v_dual_mov_b32 v17, v35
	global_store_b128 v[0:1], v[16:19], off offset:8
.LBB1_123:
	s_wait_xcnt 0x0
	s_or_b32 exec_lo, exec_lo, s6
	v_lshlrev_b64_e32 v[14:15], 12, v[14:15]
	s_mov_b32 s12, 0
	v_and_or_b32 v12, 0xffffff1f, v12, 32
	s_mov_b32 s14, s12
	s_mov_b32 s15, s12
	;; [unrolled: 1-line block ×3, first 2 shown]
	v_mov_b64_e32 v[20:21], s[14:15]
	v_add_nc_u64_e32 v[16:17], v[10:11], v[14:15]
	v_mov_b64_e32 v[18:19], s[12:13]
	v_dual_mov_b32 v14, v35 :: v_dual_mov_b32 v15, v35
	s_delay_alu instid0(VALU_DEP_3) | instskip(NEXT) | instid1(VALU_DEP_4)
	v_readfirstlane_b32 s6, v16
	v_readfirstlane_b32 s7, v17
	s_clause 0x3
	global_store_b128 v34, v[12:15], s[6:7]
	global_store_b128 v34, v[18:21], s[6:7] offset:16
	global_store_b128 v34, v[18:21], s[6:7] offset:32
	global_store_b128 v34, v[18:21], s[6:7] offset:48
	s_wait_xcnt 0x0
	s_and_saveexec_b32 s1, s0
	s_cbranch_execz .LBB1_131
; %bb.124:
	v_dual_mov_b32 v5, 0 :: v_dual_mov_b32 v19, s5
	s_mov_b32 s6, exec_lo
	s_clause 0x1
	global_load_b64 v[20:21], v5, s[2:3] offset:32 scope:SCOPE_SYS
	global_load_b64 v[10:11], v5, s[2:3] offset:40
	s_wait_loadcnt 0x0
	v_dual_mov_b32 v18, s4 :: v_dual_bitop2_b32 v11, s5, v11 bitop3:0x40
	v_and_b32_e32 v10, s4, v10
	s_delay_alu instid0(VALU_DEP_1) | instskip(NEXT) | instid1(VALU_DEP_1)
	v_mul_u64_e32 v[10:11], 24, v[10:11]
	v_add_nc_u64_e32 v[12:13], v[8:9], v[10:11]
	global_store_b64 v[12:13], v[20:21], off
	global_wb scope:SCOPE_SYS
	s_wait_storecnt 0x0
	s_wait_xcnt 0x0
	global_atomic_cmpswap_b64 v[10:11], v5, v[18:21], s[2:3] offset:32 th:TH_ATOMIC_RETURN scope:SCOPE_SYS
	s_wait_loadcnt 0x0
	v_cmpx_ne_u64_e64 v[10:11], v[20:21]
	s_cbranch_execz .LBB1_127
; %bb.125:
	s_mov_b32 s7, 0
.LBB1_126:                              ; =>This Inner Loop Header: Depth=1
	v_dual_mov_b32 v8, s4 :: v_dual_mov_b32 v9, s5
	s_sleep 1
	global_store_b64 v[12:13], v[10:11], off
	global_wb scope:SCOPE_SYS
	s_wait_storecnt 0x0
	s_wait_xcnt 0x0
	global_atomic_cmpswap_b64 v[8:9], v5, v[8:11], s[2:3] offset:32 th:TH_ATOMIC_RETURN scope:SCOPE_SYS
	s_wait_loadcnt 0x0
	v_cmp_eq_u64_e32 vcc_lo, v[8:9], v[10:11]
	v_mov_b64_e32 v[10:11], v[8:9]
	s_or_b32 s7, vcc_lo, s7
	s_delay_alu instid0(SALU_CYCLE_1)
	s_and_not1_b32 exec_lo, exec_lo, s7
	s_cbranch_execnz .LBB1_126
.LBB1_127:
	s_or_b32 exec_lo, exec_lo, s6
	v_mov_b32_e32 v11, 0
	s_mov_b32 s7, exec_lo
	s_mov_b32 s6, exec_lo
	v_mbcnt_lo_u32_b32 v5, s7, 0
	global_load_b64 v[8:9], v11, s[2:3] offset:16
	s_wait_xcnt 0x0
	v_cmpx_eq_u32_e32 0, v5
	s_cbranch_execz .LBB1_129
; %bb.128:
	s_bcnt1_i32_b32 s7, s7
	s_delay_alu instid0(SALU_CYCLE_1)
	v_mov_b32_e32 v10, s7
	global_wb scope:SCOPE_SYS
	s_wait_loadcnt 0x0
	s_wait_storecnt 0x0
	global_atomic_add_u64 v[8:9], v[10:11], off offset:8 scope:SCOPE_SYS
.LBB1_129:
	s_wait_xcnt 0x0
	s_or_b32 exec_lo, exec_lo, s6
	s_wait_loadcnt 0x0
	global_load_b64 v[10:11], v[8:9], off offset:16
	s_wait_loadcnt 0x0
	v_cmp_eq_u64_e32 vcc_lo, 0, v[10:11]
	s_cbranch_vccnz .LBB1_131
; %bb.130:
	global_load_b32 v8, v[8:9], off offset:24
	s_wait_xcnt 0x0
	v_mov_b32_e32 v9, 0
	s_wait_loadcnt 0x0
	v_readfirstlane_b32 s6, v8
	global_wb scope:SCOPE_SYS
	s_wait_storecnt 0x0
	global_store_b64 v[10:11], v[8:9], off scope:SCOPE_SYS
	s_and_b32 m0, s6, 0xffffff
	s_sendmsg sendmsg(MSG_INTERRUPT)
.LBB1_131:
	s_wait_xcnt 0x0
	s_or_b32 exec_lo, exec_lo, s1
	v_add_nc_u64_e32 v[8:9], v[16:17], v[34:35]
	s_branch .LBB1_135
.LBB1_132:                              ;   in Loop: Header=BB1_135 Depth=1
	s_wait_xcnt 0x0
	s_or_b32 exec_lo, exec_lo, s1
	s_delay_alu instid0(VALU_DEP_1)
	v_readfirstlane_b32 s1, v5
	s_cmp_eq_u32 s1, 0
	s_cbranch_scc1 .LBB1_134
; %bb.133:                              ;   in Loop: Header=BB1_135 Depth=1
	s_sleep 1
	s_cbranch_execnz .LBB1_135
	s_branch .LBB1_137
.LBB1_134:
	s_branch .LBB1_137
.LBB1_135:                              ; =>This Inner Loop Header: Depth=1
	v_mov_b32_e32 v5, 1
	s_and_saveexec_b32 s1, s0
	s_cbranch_execz .LBB1_132
; %bb.136:                              ;   in Loop: Header=BB1_135 Depth=1
	global_load_b32 v5, v[0:1], off offset:20 scope:SCOPE_SYS
	s_wait_loadcnt 0x0
	global_inv scope:SCOPE_SYS
	v_and_b32_e32 v5, 1, v5
	s_branch .LBB1_132
.LBB1_137:
	global_load_b64 v[8:9], v[8:9], off
	s_wait_xcnt 0x0
	s_and_saveexec_b32 s6, s0
	s_cbranch_execz .LBB1_141
; %bb.138:
	v_mov_b32_e32 v5, 0
	s_clause 0x2
	global_load_b64 v[0:1], v5, s[2:3] offset:40
	global_load_b64 v[14:15], v5, s[2:3] offset:24 scope:SCOPE_SYS
	global_load_b64 v[10:11], v5, s[2:3]
	s_wait_loadcnt 0x2
	v_readfirstlane_b32 s10, v0
	v_readfirstlane_b32 s11, v1
	s_add_nc_u64 s[0:1], s[10:11], 1
	s_delay_alu instid0(SALU_CYCLE_1) | instskip(NEXT) | instid1(SALU_CYCLE_1)
	s_add_nc_u64 s[4:5], s[0:1], s[4:5]
	s_cmp_eq_u64 s[4:5], 0
	s_cselect_b32 s1, s1, s5
	s_cselect_b32 s0, s0, s4
	v_mov_b32_e32 v13, s1
	s_and_b64 s[4:5], s[0:1], s[10:11]
	v_mov_b32_e32 v12, s0
	s_mul_u64 s[4:5], s[4:5], 24
	s_wait_loadcnt 0x0
	v_add_nc_u64_e32 v[0:1], s[4:5], v[10:11]
	global_store_b64 v[0:1], v[14:15], off
	global_wb scope:SCOPE_SYS
	s_wait_storecnt 0x0
	s_wait_xcnt 0x0
	global_atomic_cmpswap_b64 v[12:13], v5, v[12:15], s[2:3] offset:24 th:TH_ATOMIC_RETURN scope:SCOPE_SYS
	s_wait_loadcnt 0x0
	v_cmp_ne_u64_e32 vcc_lo, v[12:13], v[14:15]
	s_and_b32 exec_lo, exec_lo, vcc_lo
	s_cbranch_execz .LBB1_141
; %bb.139:
	s_mov_b32 s4, 0
.LBB1_140:                              ; =>This Inner Loop Header: Depth=1
	v_dual_mov_b32 v10, s0 :: v_dual_mov_b32 v11, s1
	s_sleep 1
	global_store_b64 v[0:1], v[12:13], off
	global_wb scope:SCOPE_SYS
	s_wait_storecnt 0x0
	s_wait_xcnt 0x0
	global_atomic_cmpswap_b64 v[10:11], v5, v[10:13], s[2:3] offset:24 th:TH_ATOMIC_RETURN scope:SCOPE_SYS
	s_wait_loadcnt 0x0
	v_cmp_eq_u64_e32 vcc_lo, v[10:11], v[12:13]
	v_mov_b64_e32 v[12:13], v[10:11]
	s_or_b32 s4, vcc_lo, s4
	s_delay_alu instid0(SALU_CYCLE_1)
	s_and_not1_b32 exec_lo, exec_lo, s4
	s_cbranch_execnz .LBB1_140
.LBB1_141:
	s_or_b32 exec_lo, exec_lo, s6
.LBB1_142:
	v_mov_b64_e32 v[0:1], v[2:3]
	s_mov_b32 s0, 0
.LBB1_143:                              ; =>This Inner Loop Header: Depth=1
	global_load_u8 v5, v[0:1], off
	s_wait_xcnt 0x0
	v_add_nc_u64_e32 v[0:1], 1, v[0:1]
	s_wait_loadcnt 0x0
	v_cmp_eq_u16_e32 vcc_lo, 0, v5
	s_or_b32 s0, vcc_lo, s0
	s_delay_alu instid0(SALU_CYCLE_1)
	s_and_not1_b32 exec_lo, exec_lo, s0
	s_cbranch_execnz .LBB1_143
; %bb.144:
	s_or_b32 exec_lo, exec_lo, s0
	s_delay_alu instid0(SALU_CYCLE_1)
	s_mov_b32 s0, exec_lo
	v_cmpx_ne_u64_e32 0, v[2:3]
	s_xor_b32 s6, exec_lo, s0
	s_cbranch_execz .LBB1_230
; %bb.145:
	v_dual_sub_nc_u32 v0, v0, v2 :: v_dual_bitop2_b32 v32, 2, v8 bitop3:0x40
	v_mov_b64_e32 v[14:15], 0x100000002
	v_dual_mov_b32 v35, 0 :: v_dual_bitop2_b32 v8, -3, v8 bitop3:0x40
	s_delay_alu instid0(VALU_DEP_3)
	v_ashrrev_i32_e32 v1, 31, v0
	s_mov_b32 s10, 0
	s_mov_b32 s7, 0
	s_branch .LBB1_147
.LBB1_146:                              ;   in Loop: Header=BB1_147 Depth=1
	s_or_b32 exec_lo, exec_lo, s11
	v_sub_nc_u64_e32 v[0:1], v[0:1], v[38:39]
	v_add_nc_u64_e32 v[2:3], v[2:3], v[38:39]
	s_delay_alu instid0(VALU_DEP_2) | instskip(SKIP_1) | instid1(SALU_CYCLE_1)
	v_cmp_eq_u64_e32 vcc_lo, 0, v[0:1]
	s_or_b32 s7, vcc_lo, s7
	s_and_not1_b32 exec_lo, exec_lo, s7
	s_cbranch_execz .LBB1_229
.LBB1_147:                              ; =>This Loop Header: Depth=1
                                        ;     Child Loop BB1_150 Depth 2
                                        ;     Child Loop BB1_158 Depth 2
	;; [unrolled: 1-line block ×11, first 2 shown]
	s_delay_alu instid0(VALU_DEP_1) | instskip(NEXT) | instid1(VALU_DEP_3)
	v_min_u64 v[38:39], v[0:1], 56
	v_add_nc_u64_e32 v[18:19], 8, v[2:3]
	s_mov_b32 s0, exec_lo
	v_cmpx_gt_u64_e32 8, v[0:1]
	s_xor_b32 s4, exec_lo, s0
	s_cbranch_execz .LBB1_153
; %bb.148:                              ;   in Loop: Header=BB1_147 Depth=1
	v_mov_b64_e32 v[10:11], 0
	s_mov_b32 s5, exec_lo
	v_cmpx_ne_u64_e32 0, v[0:1]
	s_cbranch_execz .LBB1_152
; %bb.149:                              ;   in Loop: Header=BB1_147 Depth=1
	v_mov_b64_e32 v[10:11], 0
	v_mov_b64_e32 v[16:17], v[2:3]
	v_lshlrev_b32_e32 v12, 3, v38
	s_mov_b64 s[0:1], 0
	s_mov_b32 s11, 0
.LBB1_150:                              ;   Parent Loop BB1_147 Depth=1
                                        ; =>  This Inner Loop Header: Depth=2
	global_load_u8 v5, v[16:17], off
	v_mov_b32_e32 v19, s10
	s_wait_xcnt 0x0
	v_add_nc_u64_e32 v[16:17], 1, v[16:17]
	s_wait_loadcnt 0x0
	v_and_b32_e32 v18, 0xffff, v5
	s_delay_alu instid0(VALU_DEP_1) | instskip(SKIP_1) | instid1(SALU_CYCLE_1)
	v_lshlrev_b64_e32 v[18:19], s0, v[18:19]
	s_add_nc_u64 s[0:1], s[0:1], 8
	v_cmp_eq_u32_e32 vcc_lo, s0, v12
	s_delay_alu instid0(VALU_DEP_2) | instskip(NEXT) | instid1(VALU_DEP_3)
	v_or_b32_e32 v11, v19, v11
	v_or_b32_e32 v10, v18, v10
	s_or_b32 s11, vcc_lo, s11
	s_delay_alu instid0(SALU_CYCLE_1)
	s_and_not1_b32 exec_lo, exec_lo, s11
	s_cbranch_execnz .LBB1_150
; %bb.151:                              ;   in Loop: Header=BB1_147 Depth=1
	s_or_b32 exec_lo, exec_lo, s11
.LBB1_152:                              ;   in Loop: Header=BB1_147 Depth=1
	s_delay_alu instid0(SALU_CYCLE_1)
	s_or_b32 exec_lo, exec_lo, s5
	v_mov_b64_e32 v[18:19], v[2:3]
.LBB1_153:                              ;   in Loop: Header=BB1_147 Depth=1
	s_or_saveexec_b32 s0, s4
	v_mov_b32_e32 v5, 0
	s_xor_b32 exec_lo, exec_lo, s0
	s_cbranch_execz .LBB1_155
; %bb.154:                              ;   in Loop: Header=BB1_147 Depth=1
	global_load_b64 v[10:11], v[2:3], off
	v_add_nc_u32_e32 v5, -8, v38
.LBB1_155:                              ;   in Loop: Header=BB1_147 Depth=1
	s_wait_xcnt 0x0
	s_or_b32 exec_lo, exec_lo, s0
	v_add_nc_u64_e32 v[12:13], 8, v[18:19]
                                        ; implicit-def: $vgpr16_vgpr17
	s_mov_b32 s0, exec_lo
	v_cmpx_gt_u32_e32 8, v5
	s_xor_b32 s11, exec_lo, s0
	s_cbranch_execz .LBB1_161
; %bb.156:                              ;   in Loop: Header=BB1_147 Depth=1
	v_mov_b64_e32 v[16:17], 0
	s_mov_b32 s12, exec_lo
	v_cmpx_ne_u32_e32 0, v5
	s_cbranch_execz .LBB1_160
; %bb.157:                              ;   in Loop: Header=BB1_147 Depth=1
	v_mov_b64_e32 v[16:17], 0
	s_mov_b64 s[0:1], 0
	s_mov_b32 s13, 0
	s_mov_b64 s[4:5], 0
.LBB1_158:                              ;   Parent Loop BB1_147 Depth=1
                                        ; =>  This Inner Loop Header: Depth=2
	s_delay_alu instid0(SALU_CYCLE_1) | instskip(SKIP_1) | instid1(SALU_CYCLE_1)
	v_add_nc_u64_e32 v[12:13], s[4:5], v[18:19]
	s_add_nc_u64 s[4:5], s[4:5], 1
	v_cmp_eq_u32_e32 vcc_lo, s4, v5
	global_load_u8 v12, v[12:13], off
	s_wait_xcnt 0x0
	v_mov_b32_e32 v13, s10
	s_or_b32 s13, vcc_lo, s13
	s_wait_loadcnt 0x0
	v_and_b32_e32 v12, 0xffff, v12
	s_delay_alu instid0(VALU_DEP_1) | instskip(SKIP_1) | instid1(VALU_DEP_1)
	v_lshlrev_b64_e32 v[12:13], s0, v[12:13]
	s_add_nc_u64 s[0:1], s[0:1], 8
	v_or_b32_e32 v17, v13, v17
	s_delay_alu instid0(VALU_DEP_2)
	v_or_b32_e32 v16, v12, v16
	s_and_not1_b32 exec_lo, exec_lo, s13
	s_cbranch_execnz .LBB1_158
; %bb.159:                              ;   in Loop: Header=BB1_147 Depth=1
	s_or_b32 exec_lo, exec_lo, s13
.LBB1_160:                              ;   in Loop: Header=BB1_147 Depth=1
	s_delay_alu instid0(SALU_CYCLE_1)
	s_or_b32 exec_lo, exec_lo, s12
	v_mov_b64_e32 v[12:13], v[18:19]
                                        ; implicit-def: $vgpr5
.LBB1_161:                              ;   in Loop: Header=BB1_147 Depth=1
	s_or_saveexec_b32 s0, s11
	v_mov_b32_e32 v20, 0
	s_xor_b32 exec_lo, exec_lo, s0
	s_cbranch_execz .LBB1_163
; %bb.162:                              ;   in Loop: Header=BB1_147 Depth=1
	global_load_b64 v[16:17], v[18:19], off
	v_add_nc_u32_e32 v20, -8, v5
.LBB1_163:                              ;   in Loop: Header=BB1_147 Depth=1
	s_wait_xcnt 0x0
	s_or_b32 exec_lo, exec_lo, s0
	v_add_nc_u64_e32 v[22:23], 8, v[12:13]
	s_mov_b32 s0, exec_lo
	v_cmpx_gt_u32_e32 8, v20
	s_xor_b32 s11, exec_lo, s0
	s_cbranch_execz .LBB1_169
; %bb.164:                              ;   in Loop: Header=BB1_147 Depth=1
	v_mov_b64_e32 v[18:19], 0
	s_mov_b32 s12, exec_lo
	v_cmpx_ne_u32_e32 0, v20
	s_cbranch_execz .LBB1_168
; %bb.165:                              ;   in Loop: Header=BB1_147 Depth=1
	v_mov_b64_e32 v[18:19], 0
	s_mov_b64 s[0:1], 0
	s_mov_b32 s13, 0
	s_mov_b64 s[4:5], 0
.LBB1_166:                              ;   Parent Loop BB1_147 Depth=1
                                        ; =>  This Inner Loop Header: Depth=2
	s_delay_alu instid0(SALU_CYCLE_1) | instskip(SKIP_1) | instid1(SALU_CYCLE_1)
	v_add_nc_u64_e32 v[22:23], s[4:5], v[12:13]
	s_add_nc_u64 s[4:5], s[4:5], 1
	v_cmp_eq_u32_e32 vcc_lo, s4, v20
	global_load_u8 v5, v[22:23], off
	s_wait_xcnt 0x0
	v_mov_b32_e32 v23, s10
	s_or_b32 s13, vcc_lo, s13
	s_wait_loadcnt 0x0
	v_and_b32_e32 v22, 0xffff, v5
	s_delay_alu instid0(VALU_DEP_1) | instskip(SKIP_1) | instid1(VALU_DEP_1)
	v_lshlrev_b64_e32 v[22:23], s0, v[22:23]
	s_add_nc_u64 s[0:1], s[0:1], 8
	v_or_b32_e32 v19, v23, v19
	s_delay_alu instid0(VALU_DEP_2)
	v_or_b32_e32 v18, v22, v18
	s_and_not1_b32 exec_lo, exec_lo, s13
	s_cbranch_execnz .LBB1_166
; %bb.167:                              ;   in Loop: Header=BB1_147 Depth=1
	s_or_b32 exec_lo, exec_lo, s13
.LBB1_168:                              ;   in Loop: Header=BB1_147 Depth=1
	s_delay_alu instid0(SALU_CYCLE_1)
	s_or_b32 exec_lo, exec_lo, s12
	v_mov_b64_e32 v[22:23], v[12:13]
                                        ; implicit-def: $vgpr20
.LBB1_169:                              ;   in Loop: Header=BB1_147 Depth=1
	s_or_saveexec_b32 s0, s11
	v_mov_b32_e32 v5, 0
	s_xor_b32 exec_lo, exec_lo, s0
	s_cbranch_execz .LBB1_171
; %bb.170:                              ;   in Loop: Header=BB1_147 Depth=1
	global_load_b64 v[18:19], v[12:13], off
	v_add_nc_u32_e32 v5, -8, v20
.LBB1_171:                              ;   in Loop: Header=BB1_147 Depth=1
	s_wait_xcnt 0x0
	s_or_b32 exec_lo, exec_lo, s0
	v_add_nc_u64_e32 v[12:13], 8, v[22:23]
                                        ; implicit-def: $vgpr20_vgpr21
	s_mov_b32 s0, exec_lo
	v_cmpx_gt_u32_e32 8, v5
	s_xor_b32 s11, exec_lo, s0
	s_cbranch_execz .LBB1_177
; %bb.172:                              ;   in Loop: Header=BB1_147 Depth=1
	v_mov_b64_e32 v[20:21], 0
	s_mov_b32 s12, exec_lo
	v_cmpx_ne_u32_e32 0, v5
	s_cbranch_execz .LBB1_176
; %bb.173:                              ;   in Loop: Header=BB1_147 Depth=1
	v_mov_b64_e32 v[20:21], 0
	s_mov_b64 s[0:1], 0
	s_mov_b32 s13, 0
	s_mov_b64 s[4:5], 0
.LBB1_174:                              ;   Parent Loop BB1_147 Depth=1
                                        ; =>  This Inner Loop Header: Depth=2
	s_delay_alu instid0(SALU_CYCLE_1) | instskip(SKIP_1) | instid1(SALU_CYCLE_1)
	v_add_nc_u64_e32 v[12:13], s[4:5], v[22:23]
	s_add_nc_u64 s[4:5], s[4:5], 1
	v_cmp_eq_u32_e32 vcc_lo, s4, v5
	global_load_u8 v12, v[12:13], off
	s_wait_xcnt 0x0
	v_mov_b32_e32 v13, s10
	s_or_b32 s13, vcc_lo, s13
	s_wait_loadcnt 0x0
	v_and_b32_e32 v12, 0xffff, v12
	s_delay_alu instid0(VALU_DEP_1) | instskip(SKIP_1) | instid1(VALU_DEP_1)
	v_lshlrev_b64_e32 v[12:13], s0, v[12:13]
	s_add_nc_u64 s[0:1], s[0:1], 8
	v_or_b32_e32 v21, v13, v21
	s_delay_alu instid0(VALU_DEP_2)
	v_or_b32_e32 v20, v12, v20
	s_and_not1_b32 exec_lo, exec_lo, s13
	s_cbranch_execnz .LBB1_174
; %bb.175:                              ;   in Loop: Header=BB1_147 Depth=1
	s_or_b32 exec_lo, exec_lo, s13
.LBB1_176:                              ;   in Loop: Header=BB1_147 Depth=1
	s_delay_alu instid0(SALU_CYCLE_1)
	s_or_b32 exec_lo, exec_lo, s12
	v_mov_b64_e32 v[12:13], v[22:23]
                                        ; implicit-def: $vgpr5
.LBB1_177:                              ;   in Loop: Header=BB1_147 Depth=1
	s_or_saveexec_b32 s0, s11
	v_mov_b32_e32 v24, 0
	s_xor_b32 exec_lo, exec_lo, s0
	s_cbranch_execz .LBB1_179
; %bb.178:                              ;   in Loop: Header=BB1_147 Depth=1
	global_load_b64 v[20:21], v[22:23], off
	v_add_nc_u32_e32 v24, -8, v5
.LBB1_179:                              ;   in Loop: Header=BB1_147 Depth=1
	s_wait_xcnt 0x0
	s_or_b32 exec_lo, exec_lo, s0
	v_add_nc_u64_e32 v[26:27], 8, v[12:13]
	s_mov_b32 s0, exec_lo
	v_cmpx_gt_u32_e32 8, v24
	s_xor_b32 s11, exec_lo, s0
	s_cbranch_execz .LBB1_185
; %bb.180:                              ;   in Loop: Header=BB1_147 Depth=1
	v_mov_b64_e32 v[22:23], 0
	s_mov_b32 s12, exec_lo
	v_cmpx_ne_u32_e32 0, v24
	s_cbranch_execz .LBB1_184
; %bb.181:                              ;   in Loop: Header=BB1_147 Depth=1
	v_mov_b64_e32 v[22:23], 0
	s_mov_b64 s[0:1], 0
	s_mov_b32 s13, 0
	s_mov_b64 s[4:5], 0
.LBB1_182:                              ;   Parent Loop BB1_147 Depth=1
                                        ; =>  This Inner Loop Header: Depth=2
	s_delay_alu instid0(SALU_CYCLE_1) | instskip(SKIP_1) | instid1(SALU_CYCLE_1)
	v_add_nc_u64_e32 v[26:27], s[4:5], v[12:13]
	s_add_nc_u64 s[4:5], s[4:5], 1
	v_cmp_eq_u32_e32 vcc_lo, s4, v24
	global_load_u8 v5, v[26:27], off
	s_wait_xcnt 0x0
	v_mov_b32_e32 v27, s10
	s_or_b32 s13, vcc_lo, s13
	s_wait_loadcnt 0x0
	v_and_b32_e32 v26, 0xffff, v5
	s_delay_alu instid0(VALU_DEP_1) | instskip(SKIP_1) | instid1(VALU_DEP_1)
	v_lshlrev_b64_e32 v[26:27], s0, v[26:27]
	s_add_nc_u64 s[0:1], s[0:1], 8
	v_or_b32_e32 v23, v27, v23
	s_delay_alu instid0(VALU_DEP_2)
	v_or_b32_e32 v22, v26, v22
	s_and_not1_b32 exec_lo, exec_lo, s13
	s_cbranch_execnz .LBB1_182
; %bb.183:                              ;   in Loop: Header=BB1_147 Depth=1
	s_or_b32 exec_lo, exec_lo, s13
.LBB1_184:                              ;   in Loop: Header=BB1_147 Depth=1
	s_delay_alu instid0(SALU_CYCLE_1)
	s_or_b32 exec_lo, exec_lo, s12
	v_mov_b64_e32 v[26:27], v[12:13]
                                        ; implicit-def: $vgpr24
.LBB1_185:                              ;   in Loop: Header=BB1_147 Depth=1
	s_or_saveexec_b32 s0, s11
	v_mov_b32_e32 v5, 0
	s_xor_b32 exec_lo, exec_lo, s0
	s_cbranch_execz .LBB1_187
; %bb.186:                              ;   in Loop: Header=BB1_147 Depth=1
	global_load_b64 v[22:23], v[12:13], off
	v_add_nc_u32_e32 v5, -8, v24
.LBB1_187:                              ;   in Loop: Header=BB1_147 Depth=1
	s_wait_xcnt 0x0
	s_or_b32 exec_lo, exec_lo, s0
	v_add_nc_u64_e32 v[12:13], 8, v[26:27]
                                        ; implicit-def: $vgpr24_vgpr25
	s_mov_b32 s0, exec_lo
	v_cmpx_gt_u32_e32 8, v5
	s_xor_b32 s11, exec_lo, s0
	s_cbranch_execz .LBB1_193
; %bb.188:                              ;   in Loop: Header=BB1_147 Depth=1
	v_mov_b64_e32 v[24:25], 0
	s_mov_b32 s12, exec_lo
	v_cmpx_ne_u32_e32 0, v5
	s_cbranch_execz .LBB1_192
; %bb.189:                              ;   in Loop: Header=BB1_147 Depth=1
	v_mov_b64_e32 v[24:25], 0
	s_mov_b64 s[0:1], 0
	s_mov_b32 s13, 0
	s_mov_b64 s[4:5], 0
.LBB1_190:                              ;   Parent Loop BB1_147 Depth=1
                                        ; =>  This Inner Loop Header: Depth=2
	s_delay_alu instid0(SALU_CYCLE_1) | instskip(SKIP_1) | instid1(SALU_CYCLE_1)
	v_add_nc_u64_e32 v[12:13], s[4:5], v[26:27]
	s_add_nc_u64 s[4:5], s[4:5], 1
	v_cmp_eq_u32_e32 vcc_lo, s4, v5
	global_load_u8 v12, v[12:13], off
	s_wait_xcnt 0x0
	v_mov_b32_e32 v13, s10
	s_or_b32 s13, vcc_lo, s13
	s_wait_loadcnt 0x0
	v_and_b32_e32 v12, 0xffff, v12
	s_delay_alu instid0(VALU_DEP_1) | instskip(SKIP_1) | instid1(VALU_DEP_1)
	v_lshlrev_b64_e32 v[12:13], s0, v[12:13]
	s_add_nc_u64 s[0:1], s[0:1], 8
	v_or_b32_e32 v25, v13, v25
	s_delay_alu instid0(VALU_DEP_2)
	v_or_b32_e32 v24, v12, v24
	s_and_not1_b32 exec_lo, exec_lo, s13
	s_cbranch_execnz .LBB1_190
; %bb.191:                              ;   in Loop: Header=BB1_147 Depth=1
	s_or_b32 exec_lo, exec_lo, s13
.LBB1_192:                              ;   in Loop: Header=BB1_147 Depth=1
	s_delay_alu instid0(SALU_CYCLE_1)
	s_or_b32 exec_lo, exec_lo, s12
	v_mov_b64_e32 v[12:13], v[26:27]
                                        ; implicit-def: $vgpr5
.LBB1_193:                              ;   in Loop: Header=BB1_147 Depth=1
	s_or_saveexec_b32 s0, s11
	v_mov_b32_e32 v28, 0
	s_xor_b32 exec_lo, exec_lo, s0
	s_cbranch_execz .LBB1_195
; %bb.194:                              ;   in Loop: Header=BB1_147 Depth=1
	global_load_b64 v[24:25], v[26:27], off
	v_add_nc_u32_e32 v28, -8, v5
.LBB1_195:                              ;   in Loop: Header=BB1_147 Depth=1
	s_wait_xcnt 0x0
	s_or_b32 exec_lo, exec_lo, s0
	s_delay_alu instid0(SALU_CYCLE_1) | instskip(NEXT) | instid1(VALU_DEP_1)
	s_mov_b32 s0, exec_lo
	v_cmpx_gt_u32_e32 8, v28
	s_xor_b32 s4, exec_lo, s0
	s_cbranch_execz .LBB1_201
; %bb.196:                              ;   in Loop: Header=BB1_147 Depth=1
	v_mov_b64_e32 v[26:27], 0
	s_mov_b32 s5, exec_lo
	v_cmpx_ne_u32_e32 0, v28
	s_cbranch_execz .LBB1_200
; %bb.197:                              ;   in Loop: Header=BB1_147 Depth=1
	v_mov_b64_e32 v[26:27], 0
	s_mov_b64 s[0:1], 0
	s_mov_b32 s11, 0
.LBB1_198:                              ;   Parent Loop BB1_147 Depth=1
                                        ; =>  This Inner Loop Header: Depth=2
	global_load_u8 v5, v[12:13], off
	v_dual_mov_b32 v31, s10 :: v_dual_add_nc_u32 v28, -1, v28
	s_wait_xcnt 0x0
	v_add_nc_u64_e32 v[12:13], 1, v[12:13]
	s_delay_alu instid0(VALU_DEP_2) | instskip(SKIP_3) | instid1(VALU_DEP_1)
	v_cmp_eq_u32_e32 vcc_lo, 0, v28
	s_or_b32 s11, vcc_lo, s11
	s_wait_loadcnt 0x0
	v_and_b32_e32 v30, 0xffff, v5
	v_lshlrev_b64_e32 v[30:31], s0, v[30:31]
	s_add_nc_u64 s[0:1], s[0:1], 8
	s_delay_alu instid0(VALU_DEP_1) | instskip(NEXT) | instid1(VALU_DEP_2)
	v_or_b32_e32 v27, v31, v27
	v_or_b32_e32 v26, v30, v26
	s_and_not1_b32 exec_lo, exec_lo, s11
	s_cbranch_execnz .LBB1_198
; %bb.199:                              ;   in Loop: Header=BB1_147 Depth=1
	s_or_b32 exec_lo, exec_lo, s11
.LBB1_200:                              ;   in Loop: Header=BB1_147 Depth=1
	s_delay_alu instid0(SALU_CYCLE_1)
	s_or_b32 exec_lo, exec_lo, s5
                                        ; implicit-def: $vgpr12_vgpr13
.LBB1_201:                              ;   in Loop: Header=BB1_147 Depth=1
	s_and_not1_saveexec_b32 s0, s4
	s_cbranch_execz .LBB1_203
; %bb.202:                              ;   in Loop: Header=BB1_147 Depth=1
	global_load_b64 v[26:27], v[12:13], off
.LBB1_203:                              ;   in Loop: Header=BB1_147 Depth=1
	s_wait_xcnt 0x0
	s_or_b32 exec_lo, exec_lo, s0
	v_readfirstlane_b32 s0, v54
	v_mov_b64_e32 v[12:13], 0
	s_delay_alu instid0(VALU_DEP_2)
	v_cmp_eq_u32_e64 s0, s0, v54
	s_and_saveexec_b32 s1, s0
	s_cbranch_execz .LBB1_209
; %bb.204:                              ;   in Loop: Header=BB1_147 Depth=1
	global_load_b64 v[30:31], v35, s[2:3] offset:24 scope:SCOPE_SYS
	s_wait_loadcnt 0x0
	global_inv scope:SCOPE_SYS
	s_clause 0x1
	global_load_b64 v[12:13], v35, s[2:3] offset:40
	global_load_b64 v[28:29], v35, s[2:3]
	s_mov_b32 s4, exec_lo
	s_wait_loadcnt 0x1
	v_and_b32_e32 v12, v12, v30
	v_and_b32_e32 v13, v13, v31
	s_delay_alu instid0(VALU_DEP_1) | instskip(SKIP_1) | instid1(VALU_DEP_1)
	v_mul_u64_e32 v[12:13], 24, v[12:13]
	s_wait_loadcnt 0x0
	v_add_nc_u64_e32 v[12:13], v[28:29], v[12:13]
	global_load_b64 v[28:29], v[12:13], off scope:SCOPE_SYS
	s_wait_xcnt 0x0
	s_wait_loadcnt 0x0
	global_atomic_cmpswap_b64 v[12:13], v35, v[28:31], s[2:3] offset:24 th:TH_ATOMIC_RETURN scope:SCOPE_SYS
	s_wait_loadcnt 0x0
	global_inv scope:SCOPE_SYS
	s_wait_xcnt 0x0
	v_cmpx_ne_u64_e64 v[12:13], v[30:31]
	s_cbranch_execz .LBB1_208
; %bb.205:                              ;   in Loop: Header=BB1_147 Depth=1
	s_mov_b32 s5, 0
.LBB1_206:                              ;   Parent Loop BB1_147 Depth=1
                                        ; =>  This Inner Loop Header: Depth=2
	s_sleep 1
	s_clause 0x1
	global_load_b64 v[28:29], v35, s[2:3] offset:40
	global_load_b64 v[48:49], v35, s[2:3]
	v_mov_b64_e32 v[30:31], v[12:13]
	s_wait_loadcnt 0x1
	s_delay_alu instid0(VALU_DEP_1) | instskip(SKIP_1) | instid1(VALU_DEP_1)
	v_and_b32_e32 v5, v28, v30
	s_wait_loadcnt 0x0
	v_mad_nc_u64_u32 v[12:13], v5, 24, v[48:49]
	s_delay_alu instid0(VALU_DEP_3) | instskip(NEXT) | instid1(VALU_DEP_1)
	v_and_b32_e32 v5, v29, v31
	v_mad_u32 v13, v5, 24, v13
	global_load_b64 v[28:29], v[12:13], off scope:SCOPE_SYS
	s_wait_xcnt 0x0
	s_wait_loadcnt 0x0
	global_atomic_cmpswap_b64 v[12:13], v35, v[28:31], s[2:3] offset:24 th:TH_ATOMIC_RETURN scope:SCOPE_SYS
	s_wait_loadcnt 0x0
	global_inv scope:SCOPE_SYS
	v_cmp_eq_u64_e32 vcc_lo, v[12:13], v[30:31]
	s_or_b32 s5, vcc_lo, s5
	s_wait_xcnt 0x0
	s_and_not1_b32 exec_lo, exec_lo, s5
	s_cbranch_execnz .LBB1_206
; %bb.207:                              ;   in Loop: Header=BB1_147 Depth=1
	s_or_b32 exec_lo, exec_lo, s5
.LBB1_208:                              ;   in Loop: Header=BB1_147 Depth=1
	s_delay_alu instid0(SALU_CYCLE_1)
	s_or_b32 exec_lo, exec_lo, s4
.LBB1_209:                              ;   in Loop: Header=BB1_147 Depth=1
	s_delay_alu instid0(SALU_CYCLE_1)
	s_or_b32 exec_lo, exec_lo, s1
	s_clause 0x1
	global_load_b64 v[48:49], v35, s[2:3] offset:40
	global_load_b128 v[28:31], v35, s[2:3]
	v_readfirstlane_b32 s4, v12
	v_readfirstlane_b32 s5, v13
	s_mov_b32 s1, exec_lo
	s_wait_loadcnt 0x1
	v_and_b32_e32 v50, s4, v48
	v_and_b32_e32 v51, s5, v49
	s_delay_alu instid0(VALU_DEP_1) | instskip(SKIP_1) | instid1(VALU_DEP_1)
	v_mul_u64_e32 v[12:13], 24, v[50:51]
	s_wait_loadcnt 0x0
	v_add_nc_u64_e32 v[48:49], v[28:29], v[12:13]
	s_wait_xcnt 0x0
	s_and_saveexec_b32 s11, s0
	s_cbranch_execz .LBB1_211
; %bb.210:                              ;   in Loop: Header=BB1_147 Depth=1
	v_dual_mov_b32 v12, s1 :: v_dual_mov_b32 v13, v35
	global_store_b128 v[48:49], v[12:15], off offset:8
.LBB1_211:                              ;   in Loop: Header=BB1_147 Depth=1
	s_wait_xcnt 0x0
	s_or_b32 exec_lo, exec_lo, s11
	v_cmp_gt_u64_e32 vcc_lo, 57, v[0:1]
	v_lshlrev_b64_e32 v[12:13], 12, v[50:51]
	v_and_b32_e32 v8, 0xffffff1f, v8
	v_lshl_add_u32 v33, v38, 2, 28
	v_cndmask_b32_e32 v5, 0, v32, vcc_lo
	s_delay_alu instid0(VALU_DEP_4) | instskip(NEXT) | instid1(VALU_DEP_2)
	v_add_nc_u64_e32 v[12:13], v[30:31], v[12:13]
	v_or_b32_e32 v5, v8, v5
	s_delay_alu instid0(VALU_DEP_2) | instskip(NEXT) | instid1(VALU_DEP_3)
	v_readfirstlane_b32 s12, v12
	v_readfirstlane_b32 s13, v13
	s_delay_alu instid0(VALU_DEP_3)
	v_and_or_b32 v8, 0x1e0, v33, v5
	s_clause 0x3
	global_store_b128 v34, v[8:11], s[12:13]
	global_store_b128 v34, v[16:19], s[12:13] offset:16
	global_store_b128 v34, v[20:23], s[12:13] offset:32
	;; [unrolled: 1-line block ×3, first 2 shown]
	s_wait_xcnt 0x0
	s_and_saveexec_b32 s1, s0
	s_cbranch_execz .LBB1_219
; %bb.212:                              ;   in Loop: Header=BB1_147 Depth=1
	s_clause 0x1
	global_load_b64 v[20:21], v35, s[2:3] offset:32 scope:SCOPE_SYS
	global_load_b64 v[8:9], v35, s[2:3] offset:40
	s_mov_b32 s11, exec_lo
	v_dual_mov_b32 v18, s4 :: v_dual_mov_b32 v19, s5
	s_wait_loadcnt 0x0
	v_and_b32_e32 v9, s5, v9
	v_and_b32_e32 v8, s4, v8
	s_delay_alu instid0(VALU_DEP_1) | instskip(NEXT) | instid1(VALU_DEP_1)
	v_mul_u64_e32 v[8:9], 24, v[8:9]
	v_add_nc_u64_e32 v[16:17], v[28:29], v[8:9]
	global_store_b64 v[16:17], v[20:21], off
	global_wb scope:SCOPE_SYS
	s_wait_storecnt 0x0
	s_wait_xcnt 0x0
	global_atomic_cmpswap_b64 v[10:11], v35, v[18:21], s[2:3] offset:32 th:TH_ATOMIC_RETURN scope:SCOPE_SYS
	s_wait_loadcnt 0x0
	v_cmpx_ne_u64_e64 v[10:11], v[20:21]
	s_cbranch_execz .LBB1_215
; %bb.213:                              ;   in Loop: Header=BB1_147 Depth=1
	s_mov_b32 s12, 0
.LBB1_214:                              ;   Parent Loop BB1_147 Depth=1
                                        ; =>  This Inner Loop Header: Depth=2
	v_dual_mov_b32 v8, s4 :: v_dual_mov_b32 v9, s5
	s_sleep 1
	global_store_b64 v[16:17], v[10:11], off
	global_wb scope:SCOPE_SYS
	s_wait_storecnt 0x0
	s_wait_xcnt 0x0
	global_atomic_cmpswap_b64 v[8:9], v35, v[8:11], s[2:3] offset:32 th:TH_ATOMIC_RETURN scope:SCOPE_SYS
	s_wait_loadcnt 0x0
	v_cmp_eq_u64_e32 vcc_lo, v[8:9], v[10:11]
	v_mov_b64_e32 v[10:11], v[8:9]
	s_or_b32 s12, vcc_lo, s12
	s_delay_alu instid0(SALU_CYCLE_1)
	s_and_not1_b32 exec_lo, exec_lo, s12
	s_cbranch_execnz .LBB1_214
.LBB1_215:                              ;   in Loop: Header=BB1_147 Depth=1
	s_or_b32 exec_lo, exec_lo, s11
	global_load_b64 v[8:9], v35, s[2:3] offset:16
	s_mov_b32 s12, exec_lo
	s_mov_b32 s11, exec_lo
	v_mbcnt_lo_u32_b32 v5, s12, 0
	s_wait_xcnt 0x0
	s_delay_alu instid0(VALU_DEP_1)
	v_cmpx_eq_u32_e32 0, v5
	s_cbranch_execz .LBB1_217
; %bb.216:                              ;   in Loop: Header=BB1_147 Depth=1
	s_bcnt1_i32_b32 s12, s12
	s_delay_alu instid0(SALU_CYCLE_1)
	v_dual_mov_b32 v11, v35 :: v_dual_mov_b32 v10, s12
	global_wb scope:SCOPE_SYS
	s_wait_loadcnt 0x0
	s_wait_storecnt 0x0
	global_atomic_add_u64 v[8:9], v[10:11], off offset:8 scope:SCOPE_SYS
.LBB1_217:                              ;   in Loop: Header=BB1_147 Depth=1
	s_wait_xcnt 0x0
	s_or_b32 exec_lo, exec_lo, s11
	s_wait_loadcnt 0x0
	global_load_b64 v[10:11], v[8:9], off offset:16
	s_wait_loadcnt 0x0
	v_cmp_eq_u64_e32 vcc_lo, 0, v[10:11]
	s_cbranch_vccnz .LBB1_219
; %bb.218:                              ;   in Loop: Header=BB1_147 Depth=1
	global_load_b32 v8, v[8:9], off offset:24
	s_wait_xcnt 0x0
	v_mov_b32_e32 v9, v35
	s_wait_loadcnt 0x0
	v_readfirstlane_b32 s11, v8
	global_wb scope:SCOPE_SYS
	s_wait_storecnt 0x0
	global_store_b64 v[10:11], v[8:9], off scope:SCOPE_SYS
	s_and_b32 m0, s11, 0xffffff
	s_sendmsg sendmsg(MSG_INTERRUPT)
.LBB1_219:                              ;   in Loop: Header=BB1_147 Depth=1
	s_wait_xcnt 0x0
	s_or_b32 exec_lo, exec_lo, s1
	v_add_nc_u64_e32 v[8:9], v[12:13], v[34:35]
	s_branch .LBB1_223
.LBB1_220:                              ;   in Loop: Header=BB1_223 Depth=2
	s_wait_xcnt 0x0
	s_or_b32 exec_lo, exec_lo, s1
	s_delay_alu instid0(VALU_DEP_1)
	v_readfirstlane_b32 s1, v5
	s_cmp_eq_u32 s1, 0
	s_cbranch_scc1 .LBB1_222
; %bb.221:                              ;   in Loop: Header=BB1_223 Depth=2
	s_sleep 1
	s_cbranch_execnz .LBB1_223
	s_branch .LBB1_225
.LBB1_222:                              ;   in Loop: Header=BB1_147 Depth=1
	s_branch .LBB1_225
.LBB1_223:                              ;   Parent Loop BB1_147 Depth=1
                                        ; =>  This Inner Loop Header: Depth=2
	v_mov_b32_e32 v5, 1
	s_and_saveexec_b32 s1, s0
	s_cbranch_execz .LBB1_220
; %bb.224:                              ;   in Loop: Header=BB1_223 Depth=2
	global_load_b32 v5, v[48:49], off offset:20 scope:SCOPE_SYS
	s_wait_loadcnt 0x0
	global_inv scope:SCOPE_SYS
	v_and_b32_e32 v5, 1, v5
	s_branch .LBB1_220
.LBB1_225:                              ;   in Loop: Header=BB1_147 Depth=1
	global_load_b64 v[8:9], v[8:9], off
	s_wait_xcnt 0x0
	s_and_saveexec_b32 s11, s0
	s_cbranch_execz .LBB1_146
; %bb.226:                              ;   in Loop: Header=BB1_147 Depth=1
	s_clause 0x2
	global_load_b64 v[10:11], v35, s[2:3] offset:40
	global_load_b64 v[20:21], v35, s[2:3] offset:24 scope:SCOPE_SYS
	global_load_b64 v[12:13], v35, s[2:3]
	s_wait_loadcnt 0x2
	v_readfirstlane_b32 s12, v10
	v_readfirstlane_b32 s13, v11
	s_add_nc_u64 s[0:1], s[12:13], 1
	s_delay_alu instid0(SALU_CYCLE_1) | instskip(NEXT) | instid1(SALU_CYCLE_1)
	s_add_nc_u64 s[4:5], s[0:1], s[4:5]
	s_cmp_eq_u64 s[4:5], 0
	s_cselect_b32 s1, s1, s5
	s_cselect_b32 s0, s0, s4
	s_delay_alu instid0(SALU_CYCLE_1) | instskip(SKIP_1) | instid1(SALU_CYCLE_1)
	v_dual_mov_b32 v19, s1 :: v_dual_mov_b32 v18, s0
	s_and_b64 s[4:5], s[0:1], s[12:13]
	s_mul_u64 s[4:5], s[4:5], 24
	s_wait_loadcnt 0x0
	v_add_nc_u64_e32 v[16:17], s[4:5], v[12:13]
	global_store_b64 v[16:17], v[20:21], off
	global_wb scope:SCOPE_SYS
	s_wait_storecnt 0x0
	s_wait_xcnt 0x0
	global_atomic_cmpswap_b64 v[12:13], v35, v[18:21], s[2:3] offset:24 th:TH_ATOMIC_RETURN scope:SCOPE_SYS
	s_wait_loadcnt 0x0
	v_cmp_ne_u64_e32 vcc_lo, v[12:13], v[20:21]
	s_and_b32 exec_lo, exec_lo, vcc_lo
	s_cbranch_execz .LBB1_146
; %bb.227:                              ;   in Loop: Header=BB1_147 Depth=1
	s_mov_b32 s4, 0
.LBB1_228:                              ;   Parent Loop BB1_147 Depth=1
                                        ; =>  This Inner Loop Header: Depth=2
	v_dual_mov_b32 v10, s0 :: v_dual_mov_b32 v11, s1
	s_sleep 1
	global_store_b64 v[16:17], v[12:13], off
	global_wb scope:SCOPE_SYS
	s_wait_storecnt 0x0
	s_wait_xcnt 0x0
	global_atomic_cmpswap_b64 v[10:11], v35, v[10:13], s[2:3] offset:24 th:TH_ATOMIC_RETURN scope:SCOPE_SYS
	s_wait_loadcnt 0x0
	v_cmp_eq_u64_e32 vcc_lo, v[10:11], v[12:13]
	v_mov_b64_e32 v[12:13], v[10:11]
	s_or_b32 s4, vcc_lo, s4
	s_delay_alu instid0(SALU_CYCLE_1)
	s_and_not1_b32 exec_lo, exec_lo, s4
	s_cbranch_execnz .LBB1_228
	s_branch .LBB1_146
.LBB1_229:
	s_or_b32 exec_lo, exec_lo, s7
.LBB1_230:
	s_and_not1_saveexec_b32 s6, s6
	s_cbranch_execz .LBB1_258
; %bb.231:
	v_readfirstlane_b32 s0, v54
	v_mov_b64_e32 v[10:11], 0
	s_delay_alu instid0(VALU_DEP_2)
	v_cmp_eq_u32_e64 s0, s0, v54
	s_and_saveexec_b32 s1, s0
	s_cbranch_execz .LBB1_237
; %bb.232:
	v_mov_b32_e32 v0, 0
	s_mov_b32 s4, exec_lo
	global_load_b64 v[12:13], v0, s[2:3] offset:24 scope:SCOPE_SYS
	s_wait_loadcnt 0x0
	global_inv scope:SCOPE_SYS
	s_clause 0x1
	global_load_b64 v[2:3], v0, s[2:3] offset:40
	global_load_b64 v[10:11], v0, s[2:3]
	s_wait_loadcnt 0x1
	v_and_b32_e32 v2, v2, v12
	v_and_b32_e32 v3, v3, v13
	s_delay_alu instid0(VALU_DEP_1) | instskip(SKIP_1) | instid1(VALU_DEP_1)
	v_mul_u64_e32 v[2:3], 24, v[2:3]
	s_wait_loadcnt 0x0
	v_add_nc_u64_e32 v[2:3], v[10:11], v[2:3]
	global_load_b64 v[10:11], v[2:3], off scope:SCOPE_SYS
	s_wait_xcnt 0x0
	s_wait_loadcnt 0x0
	global_atomic_cmpswap_b64 v[10:11], v0, v[10:13], s[2:3] offset:24 th:TH_ATOMIC_RETURN scope:SCOPE_SYS
	s_wait_loadcnt 0x0
	global_inv scope:SCOPE_SYS
	s_wait_xcnt 0x0
	v_cmpx_ne_u64_e64 v[10:11], v[12:13]
	s_cbranch_execz .LBB1_236
; %bb.233:
	s_mov_b32 s5, 0
.LBB1_234:                              ; =>This Inner Loop Header: Depth=1
	s_sleep 1
	s_clause 0x1
	global_load_b64 v[2:3], v0, s[2:3] offset:40
	global_load_b64 v[14:15], v0, s[2:3]
	v_mov_b64_e32 v[12:13], v[10:11]
	s_wait_loadcnt 0x1
	s_delay_alu instid0(VALU_DEP_1) | instskip(SKIP_1) | instid1(VALU_DEP_1)
	v_and_b32_e32 v1, v2, v12
	s_wait_loadcnt 0x0
	v_mad_nc_u64_u32 v[10:11], v1, 24, v[14:15]
	s_delay_alu instid0(VALU_DEP_3) | instskip(NEXT) | instid1(VALU_DEP_1)
	v_and_b32_e32 v1, v3, v13
	v_mad_u32 v11, v1, 24, v11
	global_load_b64 v[10:11], v[10:11], off scope:SCOPE_SYS
	s_wait_xcnt 0x0
	s_wait_loadcnt 0x0
	global_atomic_cmpswap_b64 v[10:11], v0, v[10:13], s[2:3] offset:24 th:TH_ATOMIC_RETURN scope:SCOPE_SYS
	s_wait_loadcnt 0x0
	global_inv scope:SCOPE_SYS
	v_cmp_eq_u64_e32 vcc_lo, v[10:11], v[12:13]
	s_or_b32 s5, vcc_lo, s5
	s_wait_xcnt 0x0
	s_and_not1_b32 exec_lo, exec_lo, s5
	s_cbranch_execnz .LBB1_234
; %bb.235:
	s_or_b32 exec_lo, exec_lo, s5
.LBB1_236:
	s_delay_alu instid0(SALU_CYCLE_1)
	s_or_b32 exec_lo, exec_lo, s4
.LBB1_237:
	s_delay_alu instid0(SALU_CYCLE_1)
	s_or_b32 exec_lo, exec_lo, s1
	v_readfirstlane_b32 s4, v10
	v_mov_b32_e32 v35, 0
	v_readfirstlane_b32 s5, v11
	s_mov_b32 s1, exec_lo
	s_clause 0x1
	global_load_b64 v[12:13], v35, s[2:3] offset:40
	global_load_b128 v[0:3], v35, s[2:3]
	s_wait_loadcnt 0x1
	v_and_b32_e32 v10, s4, v12
	v_and_b32_e32 v11, s5, v13
	s_delay_alu instid0(VALU_DEP_1) | instskip(SKIP_1) | instid1(VALU_DEP_1)
	v_mul_u64_e32 v[12:13], 24, v[10:11]
	s_wait_loadcnt 0x0
	v_add_nc_u64_e32 v[12:13], v[0:1], v[12:13]
	s_wait_xcnt 0x0
	s_and_saveexec_b32 s7, s0
	s_cbranch_execz .LBB1_239
; %bb.238:
	v_mov_b64_e32 v[16:17], 0x100000002
	v_dual_mov_b32 v14, s1 :: v_dual_mov_b32 v15, v35
	global_store_b128 v[12:13], v[14:17], off offset:8
.LBB1_239:
	s_wait_xcnt 0x0
	s_or_b32 exec_lo, exec_lo, s7
	v_lshlrev_b64_e32 v[10:11], 12, v[10:11]
	s_mov_b32 s12, 0
	v_and_or_b32 v8, 0xffffff1f, v8, 32
	s_mov_b32 s14, s12
	s_mov_b32 s15, s12
	;; [unrolled: 1-line block ×3, first 2 shown]
	v_mov_b64_e32 v[18:19], s[14:15]
	v_add_nc_u64_e32 v[14:15], v[2:3], v[10:11]
	v_mov_b64_e32 v[16:17], s[12:13]
	v_dual_mov_b32 v10, v35 :: v_dual_mov_b32 v11, v35
	s_delay_alu instid0(VALU_DEP_3) | instskip(NEXT) | instid1(VALU_DEP_4)
	v_readfirstlane_b32 s10, v14
	v_readfirstlane_b32 s11, v15
	s_clause 0x3
	global_store_b128 v34, v[8:11], s[10:11]
	global_store_b128 v34, v[16:19], s[10:11] offset:16
	global_store_b128 v34, v[16:19], s[10:11] offset:32
	;; [unrolled: 1-line block ×3, first 2 shown]
	s_wait_xcnt 0x0
	s_and_saveexec_b32 s1, s0
	s_cbranch_execz .LBB1_247
; %bb.240:
	v_dual_mov_b32 v5, 0 :: v_dual_mov_b32 v17, s5
	s_mov_b32 s7, exec_lo
	s_clause 0x1
	global_load_b64 v[18:19], v5, s[2:3] offset:32 scope:SCOPE_SYS
	global_load_b64 v[2:3], v5, s[2:3] offset:40
	s_wait_loadcnt 0x0
	v_dual_mov_b32 v16, s4 :: v_dual_bitop2_b32 v3, s5, v3 bitop3:0x40
	v_and_b32_e32 v2, s4, v2
	s_delay_alu instid0(VALU_DEP_1) | instskip(NEXT) | instid1(VALU_DEP_1)
	v_mul_u64_e32 v[2:3], 24, v[2:3]
	v_add_nc_u64_e32 v[8:9], v[0:1], v[2:3]
	global_store_b64 v[8:9], v[18:19], off
	global_wb scope:SCOPE_SYS
	s_wait_storecnt 0x0
	s_wait_xcnt 0x0
	global_atomic_cmpswap_b64 v[2:3], v5, v[16:19], s[2:3] offset:32 th:TH_ATOMIC_RETURN scope:SCOPE_SYS
	s_wait_loadcnt 0x0
	v_cmpx_ne_u64_e64 v[2:3], v[18:19]
	s_cbranch_execz .LBB1_243
; %bb.241:
	s_mov_b32 s10, 0
.LBB1_242:                              ; =>This Inner Loop Header: Depth=1
	v_dual_mov_b32 v0, s4 :: v_dual_mov_b32 v1, s5
	s_sleep 1
	global_store_b64 v[8:9], v[2:3], off
	global_wb scope:SCOPE_SYS
	s_wait_storecnt 0x0
	s_wait_xcnt 0x0
	global_atomic_cmpswap_b64 v[0:1], v5, v[0:3], s[2:3] offset:32 th:TH_ATOMIC_RETURN scope:SCOPE_SYS
	s_wait_loadcnt 0x0
	v_cmp_eq_u64_e32 vcc_lo, v[0:1], v[2:3]
	v_mov_b64_e32 v[2:3], v[0:1]
	s_or_b32 s10, vcc_lo, s10
	s_delay_alu instid0(SALU_CYCLE_1)
	s_and_not1_b32 exec_lo, exec_lo, s10
	s_cbranch_execnz .LBB1_242
.LBB1_243:
	s_or_b32 exec_lo, exec_lo, s7
	v_mov_b32_e32 v3, 0
	s_mov_b32 s10, exec_lo
	s_mov_b32 s7, exec_lo
	v_mbcnt_lo_u32_b32 v2, s10, 0
	global_load_b64 v[0:1], v3, s[2:3] offset:16
	s_wait_xcnt 0x0
	v_cmpx_eq_u32_e32 0, v2
	s_cbranch_execz .LBB1_245
; %bb.244:
	s_bcnt1_i32_b32 s10, s10
	s_delay_alu instid0(SALU_CYCLE_1)
	v_mov_b32_e32 v2, s10
	global_wb scope:SCOPE_SYS
	s_wait_loadcnt 0x0
	s_wait_storecnt 0x0
	global_atomic_add_u64 v[0:1], v[2:3], off offset:8 scope:SCOPE_SYS
.LBB1_245:
	s_wait_xcnt 0x0
	s_or_b32 exec_lo, exec_lo, s7
	s_wait_loadcnt 0x0
	global_load_b64 v[2:3], v[0:1], off offset:16
	s_wait_loadcnt 0x0
	v_cmp_eq_u64_e32 vcc_lo, 0, v[2:3]
	s_cbranch_vccnz .LBB1_247
; %bb.246:
	global_load_b32 v0, v[0:1], off offset:24
	s_wait_xcnt 0x0
	v_mov_b32_e32 v1, 0
	s_wait_loadcnt 0x0
	v_readfirstlane_b32 s7, v0
	global_wb scope:SCOPE_SYS
	s_wait_storecnt 0x0
	global_store_b64 v[2:3], v[0:1], off scope:SCOPE_SYS
	s_and_b32 m0, s7, 0xffffff
	s_sendmsg sendmsg(MSG_INTERRUPT)
.LBB1_247:
	s_wait_xcnt 0x0
	s_or_b32 exec_lo, exec_lo, s1
	v_add_nc_u64_e32 v[0:1], v[14:15], v[34:35]
	s_branch .LBB1_251
.LBB1_248:                              ;   in Loop: Header=BB1_251 Depth=1
	s_wait_xcnt 0x0
	s_or_b32 exec_lo, exec_lo, s1
	s_delay_alu instid0(VALU_DEP_1)
	v_readfirstlane_b32 s1, v2
	s_cmp_eq_u32 s1, 0
	s_cbranch_scc1 .LBB1_250
; %bb.249:                              ;   in Loop: Header=BB1_251 Depth=1
	s_sleep 1
	s_cbranch_execnz .LBB1_251
	s_branch .LBB1_253
.LBB1_250:
	s_branch .LBB1_253
.LBB1_251:                              ; =>This Inner Loop Header: Depth=1
	v_mov_b32_e32 v2, 1
	s_and_saveexec_b32 s1, s0
	s_cbranch_execz .LBB1_248
; %bb.252:                              ;   in Loop: Header=BB1_251 Depth=1
	global_load_b32 v2, v[12:13], off offset:20 scope:SCOPE_SYS
	s_wait_loadcnt 0x0
	global_inv scope:SCOPE_SYS
	v_and_b32_e32 v2, 1, v2
	s_branch .LBB1_248
.LBB1_253:
	global_load_b64 v[8:9], v[0:1], off
	s_wait_xcnt 0x0
	s_and_saveexec_b32 s7, s0
	s_cbranch_execz .LBB1_257
; %bb.254:
	v_mov_b32_e32 v5, 0
	s_clause 0x2
	global_load_b64 v[0:1], v5, s[2:3] offset:40
	global_load_b64 v[14:15], v5, s[2:3] offset:24 scope:SCOPE_SYS
	global_load_b64 v[2:3], v5, s[2:3]
	s_wait_loadcnt 0x2
	v_readfirstlane_b32 s10, v0
	v_readfirstlane_b32 s11, v1
	s_add_nc_u64 s[0:1], s[10:11], 1
	s_delay_alu instid0(SALU_CYCLE_1) | instskip(NEXT) | instid1(SALU_CYCLE_1)
	s_add_nc_u64 s[4:5], s[0:1], s[4:5]
	s_cmp_eq_u64 s[4:5], 0
	s_cselect_b32 s1, s1, s5
	s_cselect_b32 s0, s0, s4
	v_mov_b32_e32 v13, s1
	s_and_b64 s[4:5], s[0:1], s[10:11]
	v_mov_b32_e32 v12, s0
	s_mul_u64 s[4:5], s[4:5], 24
	s_wait_loadcnt 0x0
	v_add_nc_u64_e32 v[10:11], s[4:5], v[2:3]
	global_store_b64 v[10:11], v[14:15], off
	global_wb scope:SCOPE_SYS
	s_wait_storecnt 0x0
	s_wait_xcnt 0x0
	global_atomic_cmpswap_b64 v[2:3], v5, v[12:15], s[2:3] offset:24 th:TH_ATOMIC_RETURN scope:SCOPE_SYS
	s_wait_loadcnt 0x0
	v_cmp_ne_u64_e32 vcc_lo, v[2:3], v[14:15]
	s_and_b32 exec_lo, exec_lo, vcc_lo
	s_cbranch_execz .LBB1_257
; %bb.255:
	s_mov_b32 s4, 0
.LBB1_256:                              ; =>This Inner Loop Header: Depth=1
	v_dual_mov_b32 v0, s0 :: v_dual_mov_b32 v1, s1
	s_sleep 1
	global_store_b64 v[10:11], v[2:3], off
	global_wb scope:SCOPE_SYS
	s_wait_storecnt 0x0
	s_wait_xcnt 0x0
	global_atomic_cmpswap_b64 v[0:1], v5, v[0:3], s[2:3] offset:24 th:TH_ATOMIC_RETURN scope:SCOPE_SYS
	s_wait_loadcnt 0x0
	v_cmp_eq_u64_e32 vcc_lo, v[0:1], v[2:3]
	v_mov_b64_e32 v[2:3], v[0:1]
	s_or_b32 s4, vcc_lo, s4
	s_delay_alu instid0(SALU_CYCLE_1)
	s_and_not1_b32 exec_lo, exec_lo, s4
	s_cbranch_execnz .LBB1_256
.LBB1_257:
	s_or_b32 exec_lo, exec_lo, s7
.LBB1_258:
	s_delay_alu instid0(SALU_CYCLE_1) | instskip(SKIP_2) | instid1(VALU_DEP_2)
	s_or_b32 exec_lo, exec_lo, s6
	v_readfirstlane_b32 s0, v54
	v_mov_b64_e32 v[10:11], 0
	v_cmp_eq_u32_e64 s0, s0, v54
	s_and_saveexec_b32 s1, s0
	s_cbranch_execz .LBB1_264
; %bb.259:
	v_mov_b32_e32 v0, 0
	s_mov_b32 s4, exec_lo
	global_load_b64 v[12:13], v0, s[2:3] offset:24 scope:SCOPE_SYS
	s_wait_loadcnt 0x0
	global_inv scope:SCOPE_SYS
	s_clause 0x1
	global_load_b64 v[2:3], v0, s[2:3] offset:40
	global_load_b64 v[10:11], v0, s[2:3]
	s_wait_loadcnt 0x1
	v_and_b32_e32 v2, v2, v12
	v_and_b32_e32 v3, v3, v13
	s_delay_alu instid0(VALU_DEP_1) | instskip(SKIP_1) | instid1(VALU_DEP_1)
	v_mul_u64_e32 v[2:3], 24, v[2:3]
	s_wait_loadcnt 0x0
	v_add_nc_u64_e32 v[2:3], v[10:11], v[2:3]
	global_load_b64 v[10:11], v[2:3], off scope:SCOPE_SYS
	s_wait_xcnt 0x0
	s_wait_loadcnt 0x0
	global_atomic_cmpswap_b64 v[10:11], v0, v[10:13], s[2:3] offset:24 th:TH_ATOMIC_RETURN scope:SCOPE_SYS
	s_wait_loadcnt 0x0
	global_inv scope:SCOPE_SYS
	s_wait_xcnt 0x0
	v_cmpx_ne_u64_e64 v[10:11], v[12:13]
	s_cbranch_execz .LBB1_263
; %bb.260:
	s_mov_b32 s5, 0
.LBB1_261:                              ; =>This Inner Loop Header: Depth=1
	s_sleep 1
	s_clause 0x1
	global_load_b64 v[2:3], v0, s[2:3] offset:40
	global_load_b64 v[14:15], v0, s[2:3]
	v_mov_b64_e32 v[12:13], v[10:11]
	s_wait_loadcnt 0x1
	s_delay_alu instid0(VALU_DEP_1) | instskip(SKIP_1) | instid1(VALU_DEP_1)
	v_and_b32_e32 v1, v2, v12
	s_wait_loadcnt 0x0
	v_mad_nc_u64_u32 v[10:11], v1, 24, v[14:15]
	s_delay_alu instid0(VALU_DEP_3) | instskip(NEXT) | instid1(VALU_DEP_1)
	v_and_b32_e32 v1, v3, v13
	v_mad_u32 v11, v1, 24, v11
	global_load_b64 v[10:11], v[10:11], off scope:SCOPE_SYS
	s_wait_xcnt 0x0
	s_wait_loadcnt 0x0
	global_atomic_cmpswap_b64 v[10:11], v0, v[10:13], s[2:3] offset:24 th:TH_ATOMIC_RETURN scope:SCOPE_SYS
	s_wait_loadcnt 0x0
	global_inv scope:SCOPE_SYS
	v_cmp_eq_u64_e32 vcc_lo, v[10:11], v[12:13]
	s_or_b32 s5, vcc_lo, s5
	s_wait_xcnt 0x0
	s_and_not1_b32 exec_lo, exec_lo, s5
	s_cbranch_execnz .LBB1_261
; %bb.262:
	s_or_b32 exec_lo, exec_lo, s5
.LBB1_263:
	s_delay_alu instid0(SALU_CYCLE_1)
	s_or_b32 exec_lo, exec_lo, s4
.LBB1_264:
	s_delay_alu instid0(SALU_CYCLE_1)
	s_or_b32 exec_lo, exec_lo, s1
	v_readfirstlane_b32 s4, v10
	v_mov_b32_e32 v35, 0
	v_readfirstlane_b32 s5, v11
	s_mov_b32 s1, exec_lo
	s_clause 0x1
	global_load_b64 v[12:13], v35, s[2:3] offset:40
	global_load_b128 v[0:3], v35, s[2:3]
	s_wait_loadcnt 0x1
	v_and_b32_e32 v10, s4, v12
	v_and_b32_e32 v11, s5, v13
	s_delay_alu instid0(VALU_DEP_1) | instskip(SKIP_1) | instid1(VALU_DEP_1)
	v_mul_u64_e32 v[12:13], 24, v[10:11]
	s_wait_loadcnt 0x0
	v_add_nc_u64_e32 v[12:13], v[0:1], v[12:13]
	s_wait_xcnt 0x0
	s_and_saveexec_b32 s6, s0
	s_cbranch_execz .LBB1_266
; %bb.265:
	v_mov_b64_e32 v[16:17], 0x100000002
	v_dual_mov_b32 v14, s1 :: v_dual_mov_b32 v15, v35
	global_store_b128 v[12:13], v[14:17], off offset:8
.LBB1_266:
	s_wait_xcnt 0x0
	s_or_b32 exec_lo, exec_lo, s6
	v_lshlrev_b64_e32 v[10:11], 12, v[10:11]
	s_mov_b32 s12, 0
	v_and_or_b32 v8, 0xffffff1f, v8, 32
	s_mov_b32 s13, s12
	s_mov_b32 s14, s12
	;; [unrolled: 1-line block ×3, first 2 shown]
	s_delay_alu instid0(VALU_DEP_2) | instskip(SKIP_3) | instid1(VALU_DEP_4)
	v_add_nc_u64_e32 v[14:15], v[2:3], v[10:11]
	v_dual_mov_b32 v10, v4 :: v_dual_mov_b32 v11, v35
	v_mov_b64_e32 v[2:3], s[12:13]
	v_mov_b64_e32 v[4:5], s[14:15]
	v_readfirstlane_b32 s6, v14
	v_readfirstlane_b32 s7, v15
	s_clause 0x3
	global_store_b128 v34, v[8:11], s[6:7]
	global_store_b128 v34, v[2:5], s[6:7] offset:16
	global_store_b128 v34, v[2:5], s[6:7] offset:32
	;; [unrolled: 1-line block ×3, first 2 shown]
	s_wait_xcnt 0x0
	s_and_saveexec_b32 s1, s0
	s_cbranch_execz .LBB1_274
; %bb.267:
	v_dual_mov_b32 v8, 0 :: v_dual_mov_b32 v17, s5
	s_mov_b32 s6, exec_lo
	s_clause 0x1
	global_load_b64 v[18:19], v8, s[2:3] offset:32 scope:SCOPE_SYS
	global_load_b64 v[2:3], v8, s[2:3] offset:40
	s_wait_loadcnt 0x0
	v_dual_mov_b32 v16, s4 :: v_dual_bitop2_b32 v3, s5, v3 bitop3:0x40
	v_and_b32_e32 v2, s4, v2
	s_delay_alu instid0(VALU_DEP_1) | instskip(NEXT) | instid1(VALU_DEP_1)
	v_mul_u64_e32 v[2:3], 24, v[2:3]
	v_add_nc_u64_e32 v[4:5], v[0:1], v[2:3]
	global_store_b64 v[4:5], v[18:19], off
	global_wb scope:SCOPE_SYS
	s_wait_storecnt 0x0
	s_wait_xcnt 0x0
	global_atomic_cmpswap_b64 v[2:3], v8, v[16:19], s[2:3] offset:32 th:TH_ATOMIC_RETURN scope:SCOPE_SYS
	s_wait_loadcnt 0x0
	v_cmpx_ne_u64_e64 v[2:3], v[18:19]
	s_cbranch_execz .LBB1_270
; %bb.268:
	s_mov_b32 s7, 0
.LBB1_269:                              ; =>This Inner Loop Header: Depth=1
	v_dual_mov_b32 v0, s4 :: v_dual_mov_b32 v1, s5
	s_sleep 1
	global_store_b64 v[4:5], v[2:3], off
	global_wb scope:SCOPE_SYS
	s_wait_storecnt 0x0
	s_wait_xcnt 0x0
	global_atomic_cmpswap_b64 v[0:1], v8, v[0:3], s[2:3] offset:32 th:TH_ATOMIC_RETURN scope:SCOPE_SYS
	s_wait_loadcnt 0x0
	v_cmp_eq_u64_e32 vcc_lo, v[0:1], v[2:3]
	v_mov_b64_e32 v[2:3], v[0:1]
	s_or_b32 s7, vcc_lo, s7
	s_delay_alu instid0(SALU_CYCLE_1)
	s_and_not1_b32 exec_lo, exec_lo, s7
	s_cbranch_execnz .LBB1_269
.LBB1_270:
	s_or_b32 exec_lo, exec_lo, s6
	v_mov_b32_e32 v3, 0
	s_mov_b32 s7, exec_lo
	s_mov_b32 s6, exec_lo
	v_mbcnt_lo_u32_b32 v2, s7, 0
	global_load_b64 v[0:1], v3, s[2:3] offset:16
	s_wait_xcnt 0x0
	v_cmpx_eq_u32_e32 0, v2
	s_cbranch_execz .LBB1_272
; %bb.271:
	s_bcnt1_i32_b32 s7, s7
	s_delay_alu instid0(SALU_CYCLE_1)
	v_mov_b32_e32 v2, s7
	global_wb scope:SCOPE_SYS
	s_wait_loadcnt 0x0
	s_wait_storecnt 0x0
	global_atomic_add_u64 v[0:1], v[2:3], off offset:8 scope:SCOPE_SYS
.LBB1_272:
	s_wait_xcnt 0x0
	s_or_b32 exec_lo, exec_lo, s6
	s_wait_loadcnt 0x0
	global_load_b64 v[2:3], v[0:1], off offset:16
	s_wait_loadcnt 0x0
	v_cmp_eq_u64_e32 vcc_lo, 0, v[2:3]
	s_cbranch_vccnz .LBB1_274
; %bb.273:
	global_load_b32 v0, v[0:1], off offset:24
	s_wait_xcnt 0x0
	v_mov_b32_e32 v1, 0
	s_wait_loadcnt 0x0
	v_readfirstlane_b32 s6, v0
	global_wb scope:SCOPE_SYS
	s_wait_storecnt 0x0
	global_store_b64 v[2:3], v[0:1], off scope:SCOPE_SYS
	s_and_b32 m0, s6, 0xffffff
	s_sendmsg sendmsg(MSG_INTERRUPT)
.LBB1_274:
	s_wait_xcnt 0x0
	s_or_b32 exec_lo, exec_lo, s1
	v_add_nc_u64_e32 v[0:1], v[14:15], v[34:35]
	s_branch .LBB1_278
.LBB1_275:                              ;   in Loop: Header=BB1_278 Depth=1
	s_wait_xcnt 0x0
	s_or_b32 exec_lo, exec_lo, s1
	s_delay_alu instid0(VALU_DEP_1)
	v_readfirstlane_b32 s1, v2
	s_cmp_eq_u32 s1, 0
	s_cbranch_scc1 .LBB1_277
; %bb.276:                              ;   in Loop: Header=BB1_278 Depth=1
	s_sleep 1
	s_cbranch_execnz .LBB1_278
	s_branch .LBB1_280
.LBB1_277:
	s_branch .LBB1_280
.LBB1_278:                              ; =>This Inner Loop Header: Depth=1
	v_mov_b32_e32 v2, 1
	s_and_saveexec_b32 s1, s0
	s_cbranch_execz .LBB1_275
; %bb.279:                              ;   in Loop: Header=BB1_278 Depth=1
	global_load_b32 v2, v[12:13], off offset:20 scope:SCOPE_SYS
	s_wait_loadcnt 0x0
	global_inv scope:SCOPE_SYS
	v_and_b32_e32 v2, 1, v2
	s_branch .LBB1_275
.LBB1_280:
	global_load_b64 v[0:1], v[0:1], off
	s_wait_xcnt 0x0
	s_and_saveexec_b32 s6, s0
	s_cbranch_execz .LBB1_284
; %bb.281:
	v_mov_b32_e32 v10, 0
	s_clause 0x2
	global_load_b64 v[2:3], v10, s[2:3] offset:40
	global_load_b64 v[14:15], v10, s[2:3] offset:24 scope:SCOPE_SYS
	global_load_b64 v[4:5], v10, s[2:3]
	s_wait_loadcnt 0x2
	v_readfirstlane_b32 s10, v2
	v_readfirstlane_b32 s11, v3
	s_add_nc_u64 s[0:1], s[10:11], 1
	s_delay_alu instid0(SALU_CYCLE_1) | instskip(NEXT) | instid1(SALU_CYCLE_1)
	s_add_nc_u64 s[4:5], s[0:1], s[4:5]
	s_cmp_eq_u64 s[4:5], 0
	s_cselect_b32 s1, s1, s5
	s_cselect_b32 s0, s0, s4
	v_mov_b32_e32 v13, s1
	s_and_b64 s[4:5], s[0:1], s[10:11]
	v_mov_b32_e32 v12, s0
	s_mul_u64 s[4:5], s[4:5], 24
	s_wait_loadcnt 0x0
	v_add_nc_u64_e32 v[8:9], s[4:5], v[4:5]
	global_store_b64 v[8:9], v[14:15], off
	global_wb scope:SCOPE_SYS
	s_wait_storecnt 0x0
	s_wait_xcnt 0x0
	global_atomic_cmpswap_b64 v[4:5], v10, v[12:15], s[2:3] offset:24 th:TH_ATOMIC_RETURN scope:SCOPE_SYS
	s_wait_loadcnt 0x0
	v_cmp_ne_u64_e32 vcc_lo, v[4:5], v[14:15]
	s_and_b32 exec_lo, exec_lo, vcc_lo
	s_cbranch_execz .LBB1_284
; %bb.282:
	s_mov_b32 s4, 0
.LBB1_283:                              ; =>This Inner Loop Header: Depth=1
	v_dual_mov_b32 v2, s0 :: v_dual_mov_b32 v3, s1
	s_sleep 1
	global_store_b64 v[8:9], v[4:5], off
	global_wb scope:SCOPE_SYS
	s_wait_storecnt 0x0
	s_wait_xcnt 0x0
	global_atomic_cmpswap_b64 v[2:3], v10, v[2:5], s[2:3] offset:24 th:TH_ATOMIC_RETURN scope:SCOPE_SYS
	s_wait_loadcnt 0x0
	v_cmp_eq_u64_e32 vcc_lo, v[2:3], v[4:5]
	v_mov_b64_e32 v[4:5], v[2:3]
	s_or_b32 s4, vcc_lo, s4
	s_delay_alu instid0(SALU_CYCLE_1)
	s_and_not1_b32 exec_lo, exec_lo, s4
	s_cbranch_execnz .LBB1_283
.LBB1_284:
	s_or_b32 exec_lo, exec_lo, s6
	v_mov_b64_e32 v[2:3], v[36:37]
	s_mov_b32 s0, 0
.LBB1_285:                              ; =>This Inner Loop Header: Depth=1
	global_load_u8 v4, v[2:3], off
	s_wait_xcnt 0x0
	v_add_nc_u64_e32 v[2:3], 1, v[2:3]
	s_wait_loadcnt 0x0
	v_cmp_eq_u16_e32 vcc_lo, 0, v4
	s_or_b32 s0, vcc_lo, s0
	s_delay_alu instid0(SALU_CYCLE_1)
	s_and_not1_b32 exec_lo, exec_lo, s0
	s_cbranch_execnz .LBB1_285
; %bb.286:
	s_or_b32 exec_lo, exec_lo, s0
	s_delay_alu instid0(SALU_CYCLE_1)
	s_mov_b32 s0, exec_lo
	v_cmpx_ne_u64_e32 0, v[36:37]
	s_xor_b32 s6, exec_lo, s0
	s_cbranch_execz .LBB1_372
; %bb.287:
	v_dual_mov_b32 v35, 0 :: v_dual_sub_nc_u32 v28, v2, v36
	v_mov_b64_e32 v[10:11], 0x100000002
	v_and_b32_e32 v30, 2, v0
	v_and_b32_e32 v0, -3, v0
	s_delay_alu instid0(VALU_DEP_4)
	v_ashrrev_i32_e32 v29, 31, v28
	s_mov_b32 s10, 0
	s_mov_b32 s7, 0
	s_branch .LBB1_289
.LBB1_288:                              ;   in Loop: Header=BB1_289 Depth=1
	s_or_b32 exec_lo, exec_lo, s11
	v_sub_nc_u64_e32 v[28:29], v[28:29], v[32:33]
	v_add_nc_u64_e32 v[36:37], v[36:37], v[32:33]
	s_delay_alu instid0(VALU_DEP_2) | instskip(SKIP_1) | instid1(SALU_CYCLE_1)
	v_cmp_eq_u64_e32 vcc_lo, 0, v[28:29]
	s_or_b32 s7, vcc_lo, s7
	s_and_not1_b32 exec_lo, exec_lo, s7
	s_cbranch_execz .LBB1_371
.LBB1_289:                              ; =>This Loop Header: Depth=1
                                        ;     Child Loop BB1_292 Depth 2
                                        ;     Child Loop BB1_300 Depth 2
	;; [unrolled: 1-line block ×11, first 2 shown]
	s_delay_alu instid0(VALU_DEP_1) | instskip(NEXT) | instid1(VALU_DEP_3)
	v_min_u64 v[32:33], v[28:29], 56
	v_add_nc_u64_e32 v[8:9], 8, v[36:37]
	s_mov_b32 s0, exec_lo
	v_cmpx_gt_u64_e32 8, v[28:29]
	s_xor_b32 s4, exec_lo, s0
	s_cbranch_execz .LBB1_295
; %bb.290:                              ;   in Loop: Header=BB1_289 Depth=1
	v_mov_b64_e32 v[2:3], 0
	s_mov_b32 s5, exec_lo
	v_cmpx_ne_u64_e32 0, v[28:29]
	s_cbranch_execz .LBB1_294
; %bb.291:                              ;   in Loop: Header=BB1_289 Depth=1
	v_mov_b64_e32 v[2:3], 0
	v_mov_b64_e32 v[8:9], v[36:37]
	v_lshlrev_b32_e32 v4, 3, v32
	s_mov_b64 s[0:1], 0
	s_mov_b32 s11, 0
.LBB1_292:                              ;   Parent Loop BB1_289 Depth=1
                                        ; =>  This Inner Loop Header: Depth=2
	global_load_u8 v5, v[8:9], off
	v_mov_b32_e32 v13, s10
	s_wait_xcnt 0x0
	v_add_nc_u64_e32 v[8:9], 1, v[8:9]
	s_wait_loadcnt 0x0
	v_and_b32_e32 v12, 0xffff, v5
	s_delay_alu instid0(VALU_DEP_1) | instskip(SKIP_1) | instid1(SALU_CYCLE_1)
	v_lshlrev_b64_e32 v[12:13], s0, v[12:13]
	s_add_nc_u64 s[0:1], s[0:1], 8
	v_cmp_eq_u32_e32 vcc_lo, s0, v4
	s_delay_alu instid0(VALU_DEP_2) | instskip(NEXT) | instid1(VALU_DEP_3)
	v_or_b32_e32 v3, v13, v3
	v_or_b32_e32 v2, v12, v2
	s_or_b32 s11, vcc_lo, s11
	s_delay_alu instid0(SALU_CYCLE_1)
	s_and_not1_b32 exec_lo, exec_lo, s11
	s_cbranch_execnz .LBB1_292
; %bb.293:                              ;   in Loop: Header=BB1_289 Depth=1
	s_or_b32 exec_lo, exec_lo, s11
.LBB1_294:                              ;   in Loop: Header=BB1_289 Depth=1
	s_delay_alu instid0(SALU_CYCLE_1)
	s_or_b32 exec_lo, exec_lo, s5
	v_mov_b64_e32 v[8:9], v[36:37]
.LBB1_295:                              ;   in Loop: Header=BB1_289 Depth=1
	s_or_saveexec_b32 s0, s4
	v_mov_b32_e32 v14, 0
	s_xor_b32 exec_lo, exec_lo, s0
	s_cbranch_execz .LBB1_297
; %bb.296:                              ;   in Loop: Header=BB1_289 Depth=1
	global_load_b64 v[2:3], v[36:37], off
	v_add_nc_u32_e32 v14, -8, v32
.LBB1_297:                              ;   in Loop: Header=BB1_289 Depth=1
	s_wait_xcnt 0x0
	s_or_b32 exec_lo, exec_lo, s0
	v_add_nc_u64_e32 v[4:5], 8, v[8:9]
                                        ; implicit-def: $vgpr12_vgpr13
	s_mov_b32 s0, exec_lo
	v_cmpx_gt_u32_e32 8, v14
	s_xor_b32 s11, exec_lo, s0
	s_cbranch_execz .LBB1_303
; %bb.298:                              ;   in Loop: Header=BB1_289 Depth=1
	v_mov_b64_e32 v[12:13], 0
	s_mov_b32 s12, exec_lo
	v_cmpx_ne_u32_e32 0, v14
	s_cbranch_execz .LBB1_302
; %bb.299:                              ;   in Loop: Header=BB1_289 Depth=1
	v_mov_b64_e32 v[12:13], 0
	s_mov_b64 s[0:1], 0
	s_mov_b32 s13, 0
	s_mov_b64 s[4:5], 0
.LBB1_300:                              ;   Parent Loop BB1_289 Depth=1
                                        ; =>  This Inner Loop Header: Depth=2
	s_delay_alu instid0(SALU_CYCLE_1) | instskip(SKIP_1) | instid1(SALU_CYCLE_1)
	v_add_nc_u64_e32 v[4:5], s[4:5], v[8:9]
	s_add_nc_u64 s[4:5], s[4:5], 1
	v_cmp_eq_u32_e32 vcc_lo, s4, v14
	global_load_u8 v4, v[4:5], off
	s_wait_xcnt 0x0
	v_mov_b32_e32 v5, s10
	s_or_b32 s13, vcc_lo, s13
	s_wait_loadcnt 0x0
	v_and_b32_e32 v4, 0xffff, v4
	s_delay_alu instid0(VALU_DEP_1) | instskip(SKIP_1) | instid1(VALU_DEP_1)
	v_lshlrev_b64_e32 v[4:5], s0, v[4:5]
	s_add_nc_u64 s[0:1], s[0:1], 8
	v_or_b32_e32 v13, v5, v13
	s_delay_alu instid0(VALU_DEP_2)
	v_or_b32_e32 v12, v4, v12
	s_and_not1_b32 exec_lo, exec_lo, s13
	s_cbranch_execnz .LBB1_300
; %bb.301:                              ;   in Loop: Header=BB1_289 Depth=1
	s_or_b32 exec_lo, exec_lo, s13
.LBB1_302:                              ;   in Loop: Header=BB1_289 Depth=1
	s_delay_alu instid0(SALU_CYCLE_1)
	s_or_b32 exec_lo, exec_lo, s12
	v_mov_b64_e32 v[4:5], v[8:9]
                                        ; implicit-def: $vgpr14
.LBB1_303:                              ;   in Loop: Header=BB1_289 Depth=1
	s_or_saveexec_b32 s0, s11
	v_mov_b32_e32 v16, 0
	s_xor_b32 exec_lo, exec_lo, s0
	s_cbranch_execz .LBB1_305
; %bb.304:                              ;   in Loop: Header=BB1_289 Depth=1
	global_load_b64 v[12:13], v[8:9], off
	v_add_nc_u32_e32 v16, -8, v14
.LBB1_305:                              ;   in Loop: Header=BB1_289 Depth=1
	s_wait_xcnt 0x0
	s_or_b32 exec_lo, exec_lo, s0
	v_add_nc_u64_e32 v[8:9], 8, v[4:5]
	s_mov_b32 s0, exec_lo
	v_cmpx_gt_u32_e32 8, v16
	s_xor_b32 s11, exec_lo, s0
	s_cbranch_execz .LBB1_311
; %bb.306:                              ;   in Loop: Header=BB1_289 Depth=1
	v_mov_b64_e32 v[14:15], 0
	s_mov_b32 s12, exec_lo
	v_cmpx_ne_u32_e32 0, v16
	s_cbranch_execz .LBB1_310
; %bb.307:                              ;   in Loop: Header=BB1_289 Depth=1
	v_mov_b64_e32 v[14:15], 0
	s_mov_b64 s[0:1], 0
	s_mov_b32 s13, 0
	s_mov_b64 s[4:5], 0
.LBB1_308:                              ;   Parent Loop BB1_289 Depth=1
                                        ; =>  This Inner Loop Header: Depth=2
	s_delay_alu instid0(SALU_CYCLE_1) | instskip(SKIP_1) | instid1(SALU_CYCLE_1)
	v_add_nc_u64_e32 v[8:9], s[4:5], v[4:5]
	s_add_nc_u64 s[4:5], s[4:5], 1
	v_cmp_eq_u32_e32 vcc_lo, s4, v16
	global_load_u8 v8, v[8:9], off
	s_wait_xcnt 0x0
	v_mov_b32_e32 v9, s10
	s_or_b32 s13, vcc_lo, s13
	s_wait_loadcnt 0x0
	v_and_b32_e32 v8, 0xffff, v8
	s_delay_alu instid0(VALU_DEP_1) | instskip(SKIP_1) | instid1(VALU_DEP_1)
	v_lshlrev_b64_e32 v[8:9], s0, v[8:9]
	s_add_nc_u64 s[0:1], s[0:1], 8
	v_or_b32_e32 v15, v9, v15
	s_delay_alu instid0(VALU_DEP_2)
	v_or_b32_e32 v14, v8, v14
	s_and_not1_b32 exec_lo, exec_lo, s13
	s_cbranch_execnz .LBB1_308
; %bb.309:                              ;   in Loop: Header=BB1_289 Depth=1
	s_or_b32 exec_lo, exec_lo, s13
.LBB1_310:                              ;   in Loop: Header=BB1_289 Depth=1
	s_delay_alu instid0(SALU_CYCLE_1)
	s_or_b32 exec_lo, exec_lo, s12
	v_mov_b64_e32 v[8:9], v[4:5]
                                        ; implicit-def: $vgpr16
.LBB1_311:                              ;   in Loop: Header=BB1_289 Depth=1
	s_or_saveexec_b32 s0, s11
	v_mov_b32_e32 v18, 0
	s_xor_b32 exec_lo, exec_lo, s0
	s_cbranch_execz .LBB1_313
; %bb.312:                              ;   in Loop: Header=BB1_289 Depth=1
	global_load_b64 v[14:15], v[4:5], off
	v_add_nc_u32_e32 v18, -8, v16
.LBB1_313:                              ;   in Loop: Header=BB1_289 Depth=1
	s_wait_xcnt 0x0
	s_or_b32 exec_lo, exec_lo, s0
	v_add_nc_u64_e32 v[4:5], 8, v[8:9]
                                        ; implicit-def: $vgpr16_vgpr17
	s_mov_b32 s0, exec_lo
	v_cmpx_gt_u32_e32 8, v18
	s_xor_b32 s11, exec_lo, s0
	s_cbranch_execz .LBB1_319
; %bb.314:                              ;   in Loop: Header=BB1_289 Depth=1
	v_mov_b64_e32 v[16:17], 0
	s_mov_b32 s12, exec_lo
	v_cmpx_ne_u32_e32 0, v18
	s_cbranch_execz .LBB1_318
; %bb.315:                              ;   in Loop: Header=BB1_289 Depth=1
	v_mov_b64_e32 v[16:17], 0
	s_mov_b64 s[0:1], 0
	s_mov_b32 s13, 0
	s_mov_b64 s[4:5], 0
.LBB1_316:                              ;   Parent Loop BB1_289 Depth=1
                                        ; =>  This Inner Loop Header: Depth=2
	s_delay_alu instid0(SALU_CYCLE_1) | instskip(SKIP_1) | instid1(SALU_CYCLE_1)
	v_add_nc_u64_e32 v[4:5], s[4:5], v[8:9]
	s_add_nc_u64 s[4:5], s[4:5], 1
	v_cmp_eq_u32_e32 vcc_lo, s4, v18
	global_load_u8 v4, v[4:5], off
	s_wait_xcnt 0x0
	v_mov_b32_e32 v5, s10
	s_or_b32 s13, vcc_lo, s13
	s_wait_loadcnt 0x0
	v_and_b32_e32 v4, 0xffff, v4
	s_delay_alu instid0(VALU_DEP_1) | instskip(SKIP_1) | instid1(VALU_DEP_1)
	v_lshlrev_b64_e32 v[4:5], s0, v[4:5]
	s_add_nc_u64 s[0:1], s[0:1], 8
	v_or_b32_e32 v17, v5, v17
	s_delay_alu instid0(VALU_DEP_2)
	v_or_b32_e32 v16, v4, v16
	s_and_not1_b32 exec_lo, exec_lo, s13
	s_cbranch_execnz .LBB1_316
; %bb.317:                              ;   in Loop: Header=BB1_289 Depth=1
	s_or_b32 exec_lo, exec_lo, s13
.LBB1_318:                              ;   in Loop: Header=BB1_289 Depth=1
	s_delay_alu instid0(SALU_CYCLE_1)
	s_or_b32 exec_lo, exec_lo, s12
	v_mov_b64_e32 v[4:5], v[8:9]
                                        ; implicit-def: $vgpr18
.LBB1_319:                              ;   in Loop: Header=BB1_289 Depth=1
	s_or_saveexec_b32 s0, s11
	v_mov_b32_e32 v20, 0
	s_xor_b32 exec_lo, exec_lo, s0
	s_cbranch_execz .LBB1_321
; %bb.320:                              ;   in Loop: Header=BB1_289 Depth=1
	global_load_b64 v[16:17], v[8:9], off
	v_add_nc_u32_e32 v20, -8, v18
.LBB1_321:                              ;   in Loop: Header=BB1_289 Depth=1
	s_wait_xcnt 0x0
	s_or_b32 exec_lo, exec_lo, s0
	v_add_nc_u64_e32 v[8:9], 8, v[4:5]
	s_mov_b32 s0, exec_lo
	v_cmpx_gt_u32_e32 8, v20
	s_xor_b32 s11, exec_lo, s0
	s_cbranch_execz .LBB1_327
; %bb.322:                              ;   in Loop: Header=BB1_289 Depth=1
	v_mov_b64_e32 v[18:19], 0
	s_mov_b32 s12, exec_lo
	v_cmpx_ne_u32_e32 0, v20
	s_cbranch_execz .LBB1_326
; %bb.323:                              ;   in Loop: Header=BB1_289 Depth=1
	v_mov_b64_e32 v[18:19], 0
	s_mov_b64 s[0:1], 0
	s_mov_b32 s13, 0
	s_mov_b64 s[4:5], 0
.LBB1_324:                              ;   Parent Loop BB1_289 Depth=1
                                        ; =>  This Inner Loop Header: Depth=2
	s_delay_alu instid0(SALU_CYCLE_1) | instskip(SKIP_1) | instid1(SALU_CYCLE_1)
	v_add_nc_u64_e32 v[8:9], s[4:5], v[4:5]
	s_add_nc_u64 s[4:5], s[4:5], 1
	v_cmp_eq_u32_e32 vcc_lo, s4, v20
	global_load_u8 v8, v[8:9], off
	s_wait_xcnt 0x0
	v_mov_b32_e32 v9, s10
	s_or_b32 s13, vcc_lo, s13
	s_wait_loadcnt 0x0
	v_and_b32_e32 v8, 0xffff, v8
	s_delay_alu instid0(VALU_DEP_1) | instskip(SKIP_1) | instid1(VALU_DEP_1)
	v_lshlrev_b64_e32 v[8:9], s0, v[8:9]
	s_add_nc_u64 s[0:1], s[0:1], 8
	v_or_b32_e32 v19, v9, v19
	s_delay_alu instid0(VALU_DEP_2)
	v_or_b32_e32 v18, v8, v18
	s_and_not1_b32 exec_lo, exec_lo, s13
	s_cbranch_execnz .LBB1_324
; %bb.325:                              ;   in Loop: Header=BB1_289 Depth=1
	s_or_b32 exec_lo, exec_lo, s13
.LBB1_326:                              ;   in Loop: Header=BB1_289 Depth=1
	s_delay_alu instid0(SALU_CYCLE_1)
	s_or_b32 exec_lo, exec_lo, s12
	v_mov_b64_e32 v[8:9], v[4:5]
                                        ; implicit-def: $vgpr20
.LBB1_327:                              ;   in Loop: Header=BB1_289 Depth=1
	s_or_saveexec_b32 s0, s11
	v_mov_b32_e32 v22, 0
	s_xor_b32 exec_lo, exec_lo, s0
	s_cbranch_execz .LBB1_329
; %bb.328:                              ;   in Loop: Header=BB1_289 Depth=1
	global_load_b64 v[18:19], v[4:5], off
	v_add_nc_u32_e32 v22, -8, v20
.LBB1_329:                              ;   in Loop: Header=BB1_289 Depth=1
	s_wait_xcnt 0x0
	s_or_b32 exec_lo, exec_lo, s0
	v_add_nc_u64_e32 v[4:5], 8, v[8:9]
                                        ; implicit-def: $vgpr20_vgpr21
	s_mov_b32 s0, exec_lo
	v_cmpx_gt_u32_e32 8, v22
	s_xor_b32 s11, exec_lo, s0
	s_cbranch_execz .LBB1_335
; %bb.330:                              ;   in Loop: Header=BB1_289 Depth=1
	v_mov_b64_e32 v[20:21], 0
	s_mov_b32 s12, exec_lo
	v_cmpx_ne_u32_e32 0, v22
	s_cbranch_execz .LBB1_334
; %bb.331:                              ;   in Loop: Header=BB1_289 Depth=1
	v_mov_b64_e32 v[20:21], 0
	s_mov_b64 s[0:1], 0
	s_mov_b32 s13, 0
	s_mov_b64 s[4:5], 0
.LBB1_332:                              ;   Parent Loop BB1_289 Depth=1
                                        ; =>  This Inner Loop Header: Depth=2
	s_delay_alu instid0(SALU_CYCLE_1) | instskip(SKIP_1) | instid1(SALU_CYCLE_1)
	v_add_nc_u64_e32 v[4:5], s[4:5], v[8:9]
	s_add_nc_u64 s[4:5], s[4:5], 1
	v_cmp_eq_u32_e32 vcc_lo, s4, v22
	global_load_u8 v4, v[4:5], off
	s_wait_xcnt 0x0
	v_mov_b32_e32 v5, s10
	s_or_b32 s13, vcc_lo, s13
	s_wait_loadcnt 0x0
	v_and_b32_e32 v4, 0xffff, v4
	s_delay_alu instid0(VALU_DEP_1) | instskip(SKIP_1) | instid1(VALU_DEP_1)
	v_lshlrev_b64_e32 v[4:5], s0, v[4:5]
	s_add_nc_u64 s[0:1], s[0:1], 8
	v_or_b32_e32 v21, v5, v21
	s_delay_alu instid0(VALU_DEP_2)
	v_or_b32_e32 v20, v4, v20
	s_and_not1_b32 exec_lo, exec_lo, s13
	s_cbranch_execnz .LBB1_332
; %bb.333:                              ;   in Loop: Header=BB1_289 Depth=1
	s_or_b32 exec_lo, exec_lo, s13
.LBB1_334:                              ;   in Loop: Header=BB1_289 Depth=1
	s_delay_alu instid0(SALU_CYCLE_1)
	s_or_b32 exec_lo, exec_lo, s12
	v_mov_b64_e32 v[4:5], v[8:9]
                                        ; implicit-def: $vgpr22
.LBB1_335:                              ;   in Loop: Header=BB1_289 Depth=1
	s_or_saveexec_b32 s0, s11
	v_mov_b32_e32 v24, 0
	s_xor_b32 exec_lo, exec_lo, s0
	s_cbranch_execz .LBB1_337
; %bb.336:                              ;   in Loop: Header=BB1_289 Depth=1
	global_load_b64 v[20:21], v[8:9], off
	v_add_nc_u32_e32 v24, -8, v22
.LBB1_337:                              ;   in Loop: Header=BB1_289 Depth=1
	s_wait_xcnt 0x0
	s_or_b32 exec_lo, exec_lo, s0
	s_delay_alu instid0(SALU_CYCLE_1) | instskip(NEXT) | instid1(VALU_DEP_1)
	s_mov_b32 s0, exec_lo
	v_cmpx_gt_u32_e32 8, v24
	s_xor_b32 s4, exec_lo, s0
	s_cbranch_execz .LBB1_343
; %bb.338:                              ;   in Loop: Header=BB1_289 Depth=1
	v_mov_b64_e32 v[22:23], 0
	s_mov_b32 s5, exec_lo
	v_cmpx_ne_u32_e32 0, v24
	s_cbranch_execz .LBB1_342
; %bb.339:                              ;   in Loop: Header=BB1_289 Depth=1
	v_mov_b64_e32 v[22:23], 0
	s_mov_b64 s[0:1], 0
	s_mov_b32 s11, 0
.LBB1_340:                              ;   Parent Loop BB1_289 Depth=1
                                        ; =>  This Inner Loop Header: Depth=2
	global_load_u8 v8, v[4:5], off
	v_dual_mov_b32 v9, s10 :: v_dual_add_nc_u32 v24, -1, v24
	s_wait_xcnt 0x0
	v_add_nc_u64_e32 v[4:5], 1, v[4:5]
	s_delay_alu instid0(VALU_DEP_2) | instskip(SKIP_3) | instid1(VALU_DEP_1)
	v_cmp_eq_u32_e32 vcc_lo, 0, v24
	s_or_b32 s11, vcc_lo, s11
	s_wait_loadcnt 0x0
	v_and_b32_e32 v8, 0xffff, v8
	v_lshlrev_b64_e32 v[8:9], s0, v[8:9]
	s_add_nc_u64 s[0:1], s[0:1], 8
	s_delay_alu instid0(VALU_DEP_1) | instskip(NEXT) | instid1(VALU_DEP_2)
	v_or_b32_e32 v23, v9, v23
	v_or_b32_e32 v22, v8, v22
	s_and_not1_b32 exec_lo, exec_lo, s11
	s_cbranch_execnz .LBB1_340
; %bb.341:                              ;   in Loop: Header=BB1_289 Depth=1
	s_or_b32 exec_lo, exec_lo, s11
.LBB1_342:                              ;   in Loop: Header=BB1_289 Depth=1
	s_delay_alu instid0(SALU_CYCLE_1)
	s_or_b32 exec_lo, exec_lo, s5
                                        ; implicit-def: $vgpr4_vgpr5
.LBB1_343:                              ;   in Loop: Header=BB1_289 Depth=1
	s_and_not1_saveexec_b32 s0, s4
	s_cbranch_execz .LBB1_345
; %bb.344:                              ;   in Loop: Header=BB1_289 Depth=1
	global_load_b64 v[22:23], v[4:5], off
.LBB1_345:                              ;   in Loop: Header=BB1_289 Depth=1
	s_wait_xcnt 0x0
	s_or_b32 exec_lo, exec_lo, s0
	v_readfirstlane_b32 s0, v54
	v_mov_b64_e32 v[4:5], 0
	s_delay_alu instid0(VALU_DEP_2)
	v_cmp_eq_u32_e64 s0, s0, v54
	s_and_saveexec_b32 s1, s0
	s_cbranch_execz .LBB1_351
; %bb.346:                              ;   in Loop: Header=BB1_289 Depth=1
	global_load_b64 v[26:27], v35, s[2:3] offset:24 scope:SCOPE_SYS
	s_wait_loadcnt 0x0
	global_inv scope:SCOPE_SYS
	s_clause 0x1
	global_load_b64 v[4:5], v35, s[2:3] offset:40
	global_load_b64 v[8:9], v35, s[2:3]
	s_mov_b32 s4, exec_lo
	s_wait_loadcnt 0x1
	v_and_b32_e32 v4, v4, v26
	v_and_b32_e32 v5, v5, v27
	s_delay_alu instid0(VALU_DEP_1) | instskip(SKIP_1) | instid1(VALU_DEP_1)
	v_mul_u64_e32 v[4:5], 24, v[4:5]
	s_wait_loadcnt 0x0
	v_add_nc_u64_e32 v[4:5], v[8:9], v[4:5]
	global_load_b64 v[24:25], v[4:5], off scope:SCOPE_SYS
	s_wait_xcnt 0x0
	s_wait_loadcnt 0x0
	global_atomic_cmpswap_b64 v[4:5], v35, v[24:27], s[2:3] offset:24 th:TH_ATOMIC_RETURN scope:SCOPE_SYS
	s_wait_loadcnt 0x0
	global_inv scope:SCOPE_SYS
	s_wait_xcnt 0x0
	v_cmpx_ne_u64_e64 v[4:5], v[26:27]
	s_cbranch_execz .LBB1_350
; %bb.347:                              ;   in Loop: Header=BB1_289 Depth=1
	s_mov_b32 s5, 0
.LBB1_348:                              ;   Parent Loop BB1_289 Depth=1
                                        ; =>  This Inner Loop Header: Depth=2
	s_sleep 1
	s_clause 0x1
	global_load_b64 v[8:9], v35, s[2:3] offset:40
	global_load_b64 v[24:25], v35, s[2:3]
	v_mov_b64_e32 v[26:27], v[4:5]
	s_wait_loadcnt 0x1
	s_delay_alu instid0(VALU_DEP_1) | instskip(NEXT) | instid1(VALU_DEP_2)
	v_and_b32_e32 v4, v8, v26
	v_and_b32_e32 v8, v9, v27
	s_wait_loadcnt 0x0
	s_delay_alu instid0(VALU_DEP_2) | instskip(NEXT) | instid1(VALU_DEP_1)
	v_mad_nc_u64_u32 v[4:5], v4, 24, v[24:25]
	v_mad_u32 v5, v8, 24, v5
	global_load_b64 v[24:25], v[4:5], off scope:SCOPE_SYS
	s_wait_xcnt 0x0
	s_wait_loadcnt 0x0
	global_atomic_cmpswap_b64 v[4:5], v35, v[24:27], s[2:3] offset:24 th:TH_ATOMIC_RETURN scope:SCOPE_SYS
	s_wait_loadcnt 0x0
	global_inv scope:SCOPE_SYS
	v_cmp_eq_u64_e32 vcc_lo, v[4:5], v[26:27]
	s_or_b32 s5, vcc_lo, s5
	s_wait_xcnt 0x0
	s_and_not1_b32 exec_lo, exec_lo, s5
	s_cbranch_execnz .LBB1_348
; %bb.349:                              ;   in Loop: Header=BB1_289 Depth=1
	s_or_b32 exec_lo, exec_lo, s5
.LBB1_350:                              ;   in Loop: Header=BB1_289 Depth=1
	s_delay_alu instid0(SALU_CYCLE_1)
	s_or_b32 exec_lo, exec_lo, s4
.LBB1_351:                              ;   in Loop: Header=BB1_289 Depth=1
	s_delay_alu instid0(SALU_CYCLE_1)
	s_or_b32 exec_lo, exec_lo, s1
	s_clause 0x1
	global_load_b64 v[8:9], v35, s[2:3] offset:40
	global_load_b128 v[24:27], v35, s[2:3]
	v_readfirstlane_b32 s4, v4
	v_readfirstlane_b32 s5, v5
	s_mov_b32 s1, exec_lo
	s_wait_loadcnt 0x1
	v_and_b32_e32 v38, s4, v8
	v_and_b32_e32 v39, s5, v9
	s_delay_alu instid0(VALU_DEP_1) | instskip(SKIP_1) | instid1(VALU_DEP_1)
	v_mul_u64_e32 v[4:5], 24, v[38:39]
	s_wait_loadcnt 0x0
	v_add_nc_u64_e32 v[4:5], v[24:25], v[4:5]
	s_wait_xcnt 0x0
	s_and_saveexec_b32 s11, s0
	s_cbranch_execz .LBB1_353
; %bb.352:                              ;   in Loop: Header=BB1_289 Depth=1
	v_dual_mov_b32 v8, s1 :: v_dual_mov_b32 v9, v35
	global_store_b128 v[4:5], v[8:11], off offset:8
.LBB1_353:                              ;   in Loop: Header=BB1_289 Depth=1
	s_wait_xcnt 0x0
	s_or_b32 exec_lo, exec_lo, s11
	v_cmp_gt_u64_e32 vcc_lo, 57, v[28:29]
	v_lshlrev_b64_e32 v[8:9], 12, v[38:39]
	v_and_b32_e32 v0, 0xffffff1f, v0
	v_lshl_add_u32 v38, v32, 2, 28
	v_cndmask_b32_e32 v31, 0, v30, vcc_lo
	s_delay_alu instid0(VALU_DEP_4) | instskip(NEXT) | instid1(VALU_DEP_2)
	v_add_nc_u64_e32 v[8:9], v[26:27], v[8:9]
	v_or_b32_e32 v0, v0, v31
	s_delay_alu instid0(VALU_DEP_2) | instskip(NEXT) | instid1(VALU_DEP_3)
	v_readfirstlane_b32 s12, v8
	v_readfirstlane_b32 s13, v9
	s_delay_alu instid0(VALU_DEP_3)
	v_and_or_b32 v0, 0x1e0, v38, v0
	s_clause 0x3
	global_store_b128 v34, v[0:3], s[12:13]
	global_store_b128 v34, v[12:15], s[12:13] offset:16
	global_store_b128 v34, v[16:19], s[12:13] offset:32
	;; [unrolled: 1-line block ×3, first 2 shown]
	s_wait_xcnt 0x0
	s_and_saveexec_b32 s1, s0
	s_cbranch_execz .LBB1_361
; %bb.354:                              ;   in Loop: Header=BB1_289 Depth=1
	s_clause 0x1
	global_load_b64 v[16:17], v35, s[2:3] offset:32 scope:SCOPE_SYS
	global_load_b64 v[0:1], v35, s[2:3] offset:40
	s_mov_b32 s11, exec_lo
	v_dual_mov_b32 v14, s4 :: v_dual_mov_b32 v15, s5
	s_wait_loadcnt 0x0
	v_and_b32_e32 v1, s5, v1
	v_and_b32_e32 v0, s4, v0
	s_delay_alu instid0(VALU_DEP_1) | instskip(NEXT) | instid1(VALU_DEP_1)
	v_mul_u64_e32 v[0:1], 24, v[0:1]
	v_add_nc_u64_e32 v[12:13], v[24:25], v[0:1]
	global_store_b64 v[12:13], v[16:17], off
	global_wb scope:SCOPE_SYS
	s_wait_storecnt 0x0
	s_wait_xcnt 0x0
	global_atomic_cmpswap_b64 v[2:3], v35, v[14:17], s[2:3] offset:32 th:TH_ATOMIC_RETURN scope:SCOPE_SYS
	s_wait_loadcnt 0x0
	v_cmpx_ne_u64_e64 v[2:3], v[16:17]
	s_cbranch_execz .LBB1_357
; %bb.355:                              ;   in Loop: Header=BB1_289 Depth=1
	s_mov_b32 s12, 0
.LBB1_356:                              ;   Parent Loop BB1_289 Depth=1
                                        ; =>  This Inner Loop Header: Depth=2
	v_dual_mov_b32 v0, s4 :: v_dual_mov_b32 v1, s5
	s_sleep 1
	global_store_b64 v[12:13], v[2:3], off
	global_wb scope:SCOPE_SYS
	s_wait_storecnt 0x0
	s_wait_xcnt 0x0
	global_atomic_cmpswap_b64 v[0:1], v35, v[0:3], s[2:3] offset:32 th:TH_ATOMIC_RETURN scope:SCOPE_SYS
	s_wait_loadcnt 0x0
	v_cmp_eq_u64_e32 vcc_lo, v[0:1], v[2:3]
	v_mov_b64_e32 v[2:3], v[0:1]
	s_or_b32 s12, vcc_lo, s12
	s_delay_alu instid0(SALU_CYCLE_1)
	s_and_not1_b32 exec_lo, exec_lo, s12
	s_cbranch_execnz .LBB1_356
.LBB1_357:                              ;   in Loop: Header=BB1_289 Depth=1
	s_or_b32 exec_lo, exec_lo, s11
	global_load_b64 v[0:1], v35, s[2:3] offset:16
	s_mov_b32 s12, exec_lo
	s_mov_b32 s11, exec_lo
	v_mbcnt_lo_u32_b32 v2, s12, 0
	s_wait_xcnt 0x0
	s_delay_alu instid0(VALU_DEP_1)
	v_cmpx_eq_u32_e32 0, v2
	s_cbranch_execz .LBB1_359
; %bb.358:                              ;   in Loop: Header=BB1_289 Depth=1
	s_bcnt1_i32_b32 s12, s12
	s_delay_alu instid0(SALU_CYCLE_1)
	v_dual_mov_b32 v3, v35 :: v_dual_mov_b32 v2, s12
	global_wb scope:SCOPE_SYS
	s_wait_loadcnt 0x0
	s_wait_storecnt 0x0
	global_atomic_add_u64 v[0:1], v[2:3], off offset:8 scope:SCOPE_SYS
.LBB1_359:                              ;   in Loop: Header=BB1_289 Depth=1
	s_wait_xcnt 0x0
	s_or_b32 exec_lo, exec_lo, s11
	s_wait_loadcnt 0x0
	global_load_b64 v[2:3], v[0:1], off offset:16
	s_wait_loadcnt 0x0
	v_cmp_eq_u64_e32 vcc_lo, 0, v[2:3]
	s_cbranch_vccnz .LBB1_361
; %bb.360:                              ;   in Loop: Header=BB1_289 Depth=1
	global_load_b32 v0, v[0:1], off offset:24
	s_wait_xcnt 0x0
	v_mov_b32_e32 v1, v35
	s_wait_loadcnt 0x0
	v_readfirstlane_b32 s11, v0
	global_wb scope:SCOPE_SYS
	s_wait_storecnt 0x0
	global_store_b64 v[2:3], v[0:1], off scope:SCOPE_SYS
	s_and_b32 m0, s11, 0xffffff
	s_sendmsg sendmsg(MSG_INTERRUPT)
.LBB1_361:                              ;   in Loop: Header=BB1_289 Depth=1
	s_wait_xcnt 0x0
	s_or_b32 exec_lo, exec_lo, s1
	v_add_nc_u64_e32 v[0:1], v[8:9], v[34:35]
	s_branch .LBB1_365
.LBB1_362:                              ;   in Loop: Header=BB1_365 Depth=2
	s_wait_xcnt 0x0
	s_or_b32 exec_lo, exec_lo, s1
	s_delay_alu instid0(VALU_DEP_1)
	v_readfirstlane_b32 s1, v2
	s_cmp_eq_u32 s1, 0
	s_cbranch_scc1 .LBB1_364
; %bb.363:                              ;   in Loop: Header=BB1_365 Depth=2
	s_sleep 1
	s_cbranch_execnz .LBB1_365
	s_branch .LBB1_367
.LBB1_364:                              ;   in Loop: Header=BB1_289 Depth=1
	s_branch .LBB1_367
.LBB1_365:                              ;   Parent Loop BB1_289 Depth=1
                                        ; =>  This Inner Loop Header: Depth=2
	v_mov_b32_e32 v2, 1
	s_and_saveexec_b32 s1, s0
	s_cbranch_execz .LBB1_362
; %bb.366:                              ;   in Loop: Header=BB1_365 Depth=2
	global_load_b32 v2, v[4:5], off offset:20 scope:SCOPE_SYS
	s_wait_loadcnt 0x0
	global_inv scope:SCOPE_SYS
	v_and_b32_e32 v2, 1, v2
	s_branch .LBB1_362
.LBB1_367:                              ;   in Loop: Header=BB1_289 Depth=1
	global_load_b64 v[0:1], v[0:1], off
	s_wait_xcnt 0x0
	s_and_saveexec_b32 s11, s0
	s_cbranch_execz .LBB1_288
; %bb.368:                              ;   in Loop: Header=BB1_289 Depth=1
	s_clause 0x2
	global_load_b64 v[2:3], v35, s[2:3] offset:40
	global_load_b64 v[14:15], v35, s[2:3] offset:24 scope:SCOPE_SYS
	global_load_b64 v[4:5], v35, s[2:3]
	s_wait_loadcnt 0x2
	v_readfirstlane_b32 s12, v2
	v_readfirstlane_b32 s13, v3
	s_add_nc_u64 s[0:1], s[12:13], 1
	s_delay_alu instid0(SALU_CYCLE_1) | instskip(NEXT) | instid1(SALU_CYCLE_1)
	s_add_nc_u64 s[4:5], s[0:1], s[4:5]
	s_cmp_eq_u64 s[4:5], 0
	s_cselect_b32 s1, s1, s5
	s_cselect_b32 s0, s0, s4
	s_delay_alu instid0(SALU_CYCLE_1) | instskip(SKIP_1) | instid1(SALU_CYCLE_1)
	v_dual_mov_b32 v13, s1 :: v_dual_mov_b32 v12, s0
	s_and_b64 s[4:5], s[0:1], s[12:13]
	s_mul_u64 s[4:5], s[4:5], 24
	s_wait_loadcnt 0x0
	v_add_nc_u64_e32 v[8:9], s[4:5], v[4:5]
	global_store_b64 v[8:9], v[14:15], off
	global_wb scope:SCOPE_SYS
	s_wait_storecnt 0x0
	s_wait_xcnt 0x0
	global_atomic_cmpswap_b64 v[4:5], v35, v[12:15], s[2:3] offset:24 th:TH_ATOMIC_RETURN scope:SCOPE_SYS
	s_wait_loadcnt 0x0
	v_cmp_ne_u64_e32 vcc_lo, v[4:5], v[14:15]
	s_and_b32 exec_lo, exec_lo, vcc_lo
	s_cbranch_execz .LBB1_288
; %bb.369:                              ;   in Loop: Header=BB1_289 Depth=1
	s_mov_b32 s4, 0
.LBB1_370:                              ;   Parent Loop BB1_289 Depth=1
                                        ; =>  This Inner Loop Header: Depth=2
	v_dual_mov_b32 v2, s0 :: v_dual_mov_b32 v3, s1
	s_sleep 1
	global_store_b64 v[8:9], v[4:5], off
	global_wb scope:SCOPE_SYS
	s_wait_storecnt 0x0
	s_wait_xcnt 0x0
	global_atomic_cmpswap_b64 v[2:3], v35, v[2:5], s[2:3] offset:24 th:TH_ATOMIC_RETURN scope:SCOPE_SYS
	s_wait_loadcnt 0x0
	v_cmp_eq_u64_e32 vcc_lo, v[2:3], v[4:5]
	v_mov_b64_e32 v[4:5], v[2:3]
	s_or_b32 s4, vcc_lo, s4
	s_delay_alu instid0(SALU_CYCLE_1)
	s_and_not1_b32 exec_lo, exec_lo, s4
	s_cbranch_execnz .LBB1_370
	s_branch .LBB1_288
.LBB1_371:
	s_or_b32 exec_lo, exec_lo, s7
                                        ; implicit-def: $vgpr34
                                        ; implicit-def: $vgpr54
.LBB1_372:
	s_and_not1_saveexec_b32 s6, s6
	s_cbranch_execz .LBB1_400
; %bb.373:
	v_readfirstlane_b32 s0, v54
	v_mov_b64_e32 v[2:3], 0
	s_delay_alu instid0(VALU_DEP_2)
	v_cmp_eq_u32_e64 s0, s0, v54
	s_and_saveexec_b32 s1, s0
	s_cbranch_execz .LBB1_379
; %bb.374:
	v_mov_b32_e32 v4, 0
	s_mov_b32 s4, exec_lo
	global_load_b64 v[10:11], v4, s[2:3] offset:24 scope:SCOPE_SYS
	s_wait_loadcnt 0x0
	global_inv scope:SCOPE_SYS
	s_clause 0x1
	global_load_b64 v[2:3], v4, s[2:3] offset:40
	global_load_b64 v[8:9], v4, s[2:3]
	s_wait_loadcnt 0x1
	v_and_b32_e32 v2, v2, v10
	v_and_b32_e32 v3, v3, v11
	s_delay_alu instid0(VALU_DEP_1) | instskip(SKIP_1) | instid1(VALU_DEP_1)
	v_mul_u64_e32 v[2:3], 24, v[2:3]
	s_wait_loadcnt 0x0
	v_add_nc_u64_e32 v[2:3], v[8:9], v[2:3]
	global_load_b64 v[8:9], v[2:3], off scope:SCOPE_SYS
	s_wait_xcnt 0x0
	s_wait_loadcnt 0x0
	global_atomic_cmpswap_b64 v[2:3], v4, v[8:11], s[2:3] offset:24 th:TH_ATOMIC_RETURN scope:SCOPE_SYS
	s_wait_loadcnt 0x0
	global_inv scope:SCOPE_SYS
	s_wait_xcnt 0x0
	v_cmpx_ne_u64_e64 v[2:3], v[10:11]
	s_cbranch_execz .LBB1_378
; %bb.375:
	s_mov_b32 s5, 0
.LBB1_376:                              ; =>This Inner Loop Header: Depth=1
	s_sleep 1
	s_clause 0x1
	global_load_b64 v[8:9], v4, s[2:3] offset:40
	global_load_b64 v[12:13], v4, s[2:3]
	v_mov_b64_e32 v[10:11], v[2:3]
	s_wait_loadcnt 0x1
	s_delay_alu instid0(VALU_DEP_1) | instskip(NEXT) | instid1(VALU_DEP_2)
	v_and_b32_e32 v2, v8, v10
	v_and_b32_e32 v5, v9, v11
	s_wait_loadcnt 0x0
	s_delay_alu instid0(VALU_DEP_2) | instskip(NEXT) | instid1(VALU_DEP_1)
	v_mad_nc_u64_u32 v[2:3], v2, 24, v[12:13]
	v_mad_u32 v3, v5, 24, v3
	global_load_b64 v[8:9], v[2:3], off scope:SCOPE_SYS
	s_wait_xcnt 0x0
	s_wait_loadcnt 0x0
	global_atomic_cmpswap_b64 v[2:3], v4, v[8:11], s[2:3] offset:24 th:TH_ATOMIC_RETURN scope:SCOPE_SYS
	s_wait_loadcnt 0x0
	global_inv scope:SCOPE_SYS
	v_cmp_eq_u64_e32 vcc_lo, v[2:3], v[10:11]
	s_or_b32 s5, vcc_lo, s5
	s_wait_xcnt 0x0
	s_and_not1_b32 exec_lo, exec_lo, s5
	s_cbranch_execnz .LBB1_376
; %bb.377:
	s_or_b32 exec_lo, exec_lo, s5
.LBB1_378:
	s_delay_alu instid0(SALU_CYCLE_1)
	s_or_b32 exec_lo, exec_lo, s4
.LBB1_379:
	s_delay_alu instid0(SALU_CYCLE_1)
	s_or_b32 exec_lo, exec_lo, s1
	v_readfirstlane_b32 s4, v2
	v_mov_b32_e32 v35, 0
	v_readfirstlane_b32 s5, v3
	s_mov_b32 s1, exec_lo
	s_clause 0x1
	global_load_b64 v[4:5], v35, s[2:3] offset:40
	global_load_b128 v[8:11], v35, s[2:3]
	s_wait_loadcnt 0x1
	v_and_b32_e32 v2, s4, v4
	v_and_b32_e32 v3, s5, v5
	s_delay_alu instid0(VALU_DEP_1) | instskip(SKIP_1) | instid1(VALU_DEP_1)
	v_mul_u64_e32 v[4:5], 24, v[2:3]
	s_wait_loadcnt 0x0
	v_add_nc_u64_e32 v[4:5], v[8:9], v[4:5]
	s_wait_xcnt 0x0
	s_and_saveexec_b32 s7, s0
	s_cbranch_execz .LBB1_381
; %bb.380:
	v_mov_b64_e32 v[14:15], 0x100000002
	v_dual_mov_b32 v12, s1 :: v_dual_mov_b32 v13, v35
	global_store_b128 v[4:5], v[12:15], off offset:8
.LBB1_381:
	s_wait_xcnt 0x0
	s_or_b32 exec_lo, exec_lo, s7
	v_lshlrev_b64_e32 v[2:3], 12, v[2:3]
	s_mov_b32 s12, 0
	v_and_or_b32 v0, 0xffffff1f, v0, 32
	s_mov_b32 s13, s12
	s_mov_b32 s14, s12
	;; [unrolled: 1-line block ×3, first 2 shown]
	v_mov_b64_e32 v[12:13], s[12:13]
	v_add_nc_u64_e32 v[10:11], v[10:11], v[2:3]
	v_mov_b64_e32 v[14:15], s[14:15]
	v_dual_mov_b32 v2, v35 :: v_dual_mov_b32 v3, v35
	s_delay_alu instid0(VALU_DEP_3) | instskip(NEXT) | instid1(VALU_DEP_4)
	v_readfirstlane_b32 s10, v10
	v_readfirstlane_b32 s11, v11
	s_clause 0x3
	global_store_b128 v34, v[0:3], s[10:11]
	global_store_b128 v34, v[12:15], s[10:11] offset:16
	global_store_b128 v34, v[12:15], s[10:11] offset:32
	;; [unrolled: 1-line block ×3, first 2 shown]
	s_wait_xcnt 0x0
	s_and_saveexec_b32 s1, s0
	s_cbranch_execz .LBB1_389
; %bb.382:
	v_dual_mov_b32 v12, 0 :: v_dual_mov_b32 v15, s5
	s_mov_b32 s7, exec_lo
	s_clause 0x1
	global_load_b64 v[16:17], v12, s[2:3] offset:32 scope:SCOPE_SYS
	global_load_b64 v[0:1], v12, s[2:3] offset:40
	s_wait_loadcnt 0x0
	v_dual_mov_b32 v14, s4 :: v_dual_bitop2_b32 v1, s5, v1 bitop3:0x40
	v_and_b32_e32 v0, s4, v0
	s_delay_alu instid0(VALU_DEP_1) | instskip(NEXT) | instid1(VALU_DEP_1)
	v_mul_u64_e32 v[0:1], 24, v[0:1]
	v_add_nc_u64_e32 v[8:9], v[8:9], v[0:1]
	global_store_b64 v[8:9], v[16:17], off
	global_wb scope:SCOPE_SYS
	s_wait_storecnt 0x0
	s_wait_xcnt 0x0
	global_atomic_cmpswap_b64 v[2:3], v12, v[14:17], s[2:3] offset:32 th:TH_ATOMIC_RETURN scope:SCOPE_SYS
	s_wait_loadcnt 0x0
	v_cmpx_ne_u64_e64 v[2:3], v[16:17]
	s_cbranch_execz .LBB1_385
; %bb.383:
	s_mov_b32 s10, 0
.LBB1_384:                              ; =>This Inner Loop Header: Depth=1
	v_dual_mov_b32 v0, s4 :: v_dual_mov_b32 v1, s5
	s_sleep 1
	global_store_b64 v[8:9], v[2:3], off
	global_wb scope:SCOPE_SYS
	s_wait_storecnt 0x0
	s_wait_xcnt 0x0
	global_atomic_cmpswap_b64 v[0:1], v12, v[0:3], s[2:3] offset:32 th:TH_ATOMIC_RETURN scope:SCOPE_SYS
	s_wait_loadcnt 0x0
	v_cmp_eq_u64_e32 vcc_lo, v[0:1], v[2:3]
	v_mov_b64_e32 v[2:3], v[0:1]
	s_or_b32 s10, vcc_lo, s10
	s_delay_alu instid0(SALU_CYCLE_1)
	s_and_not1_b32 exec_lo, exec_lo, s10
	s_cbranch_execnz .LBB1_384
.LBB1_385:
	s_or_b32 exec_lo, exec_lo, s7
	v_mov_b32_e32 v3, 0
	s_mov_b32 s10, exec_lo
	s_mov_b32 s7, exec_lo
	v_mbcnt_lo_u32_b32 v2, s10, 0
	global_load_b64 v[0:1], v3, s[2:3] offset:16
	s_wait_xcnt 0x0
	v_cmpx_eq_u32_e32 0, v2
	s_cbranch_execz .LBB1_387
; %bb.386:
	s_bcnt1_i32_b32 s10, s10
	s_delay_alu instid0(SALU_CYCLE_1)
	v_mov_b32_e32 v2, s10
	global_wb scope:SCOPE_SYS
	s_wait_loadcnt 0x0
	s_wait_storecnt 0x0
	global_atomic_add_u64 v[0:1], v[2:3], off offset:8 scope:SCOPE_SYS
.LBB1_387:
	s_wait_xcnt 0x0
	s_or_b32 exec_lo, exec_lo, s7
	s_wait_loadcnt 0x0
	global_load_b64 v[2:3], v[0:1], off offset:16
	s_wait_loadcnt 0x0
	v_cmp_eq_u64_e32 vcc_lo, 0, v[2:3]
	s_cbranch_vccnz .LBB1_389
; %bb.388:
	global_load_b32 v0, v[0:1], off offset:24
	s_wait_xcnt 0x0
	v_mov_b32_e32 v1, 0
	s_wait_loadcnt 0x0
	v_readfirstlane_b32 s7, v0
	global_wb scope:SCOPE_SYS
	s_wait_storecnt 0x0
	global_store_b64 v[2:3], v[0:1], off scope:SCOPE_SYS
	s_and_b32 m0, s7, 0xffffff
	s_sendmsg sendmsg(MSG_INTERRUPT)
.LBB1_389:
	s_wait_xcnt 0x0
	s_or_b32 exec_lo, exec_lo, s1
	v_add_nc_u64_e32 v[0:1], v[10:11], v[34:35]
	s_branch .LBB1_393
.LBB1_390:                              ;   in Loop: Header=BB1_393 Depth=1
	s_wait_xcnt 0x0
	s_or_b32 exec_lo, exec_lo, s1
	s_delay_alu instid0(VALU_DEP_1)
	v_readfirstlane_b32 s1, v2
	s_cmp_eq_u32 s1, 0
	s_cbranch_scc1 .LBB1_392
; %bb.391:                              ;   in Loop: Header=BB1_393 Depth=1
	s_sleep 1
	s_cbranch_execnz .LBB1_393
	s_branch .LBB1_395
.LBB1_392:
	s_branch .LBB1_395
.LBB1_393:                              ; =>This Inner Loop Header: Depth=1
	v_mov_b32_e32 v2, 1
	s_and_saveexec_b32 s1, s0
	s_cbranch_execz .LBB1_390
; %bb.394:                              ;   in Loop: Header=BB1_393 Depth=1
	global_load_b32 v2, v[4:5], off offset:20 scope:SCOPE_SYS
	s_wait_loadcnt 0x0
	global_inv scope:SCOPE_SYS
	v_and_b32_e32 v2, 1, v2
	s_branch .LBB1_390
.LBB1_395:
	global_load_b64 v[0:1], v[0:1], off
	s_wait_xcnt 0x0
	s_and_saveexec_b32 s7, s0
	s_cbranch_execz .LBB1_399
; %bb.396:
	v_mov_b32_e32 v10, 0
	s_clause 0x2
	global_load_b64 v[2:3], v10, s[2:3] offset:40
	global_load_b64 v[14:15], v10, s[2:3] offset:24 scope:SCOPE_SYS
	global_load_b64 v[4:5], v10, s[2:3]
	s_wait_loadcnt 0x2
	v_readfirstlane_b32 s10, v2
	v_readfirstlane_b32 s11, v3
	s_add_nc_u64 s[0:1], s[10:11], 1
	s_delay_alu instid0(SALU_CYCLE_1) | instskip(NEXT) | instid1(SALU_CYCLE_1)
	s_add_nc_u64 s[4:5], s[0:1], s[4:5]
	s_cmp_eq_u64 s[4:5], 0
	s_cselect_b32 s1, s1, s5
	s_cselect_b32 s0, s0, s4
	v_mov_b32_e32 v13, s1
	s_and_b64 s[4:5], s[0:1], s[10:11]
	v_mov_b32_e32 v12, s0
	s_mul_u64 s[4:5], s[4:5], 24
	s_wait_loadcnt 0x0
	v_add_nc_u64_e32 v[8:9], s[4:5], v[4:5]
	global_store_b64 v[8:9], v[14:15], off
	global_wb scope:SCOPE_SYS
	s_wait_storecnt 0x0
	s_wait_xcnt 0x0
	global_atomic_cmpswap_b64 v[4:5], v10, v[12:15], s[2:3] offset:24 th:TH_ATOMIC_RETURN scope:SCOPE_SYS
	s_wait_loadcnt 0x0
	v_cmp_ne_u64_e32 vcc_lo, v[4:5], v[14:15]
	s_and_b32 exec_lo, exec_lo, vcc_lo
	s_cbranch_execz .LBB1_399
; %bb.397:
	s_mov_b32 s4, 0
.LBB1_398:                              ; =>This Inner Loop Header: Depth=1
	v_dual_mov_b32 v2, s0 :: v_dual_mov_b32 v3, s1
	s_sleep 1
	global_store_b64 v[8:9], v[4:5], off
	global_wb scope:SCOPE_SYS
	s_wait_storecnt 0x0
	s_wait_xcnt 0x0
	global_atomic_cmpswap_b64 v[2:3], v10, v[2:5], s[2:3] offset:24 th:TH_ATOMIC_RETURN scope:SCOPE_SYS
	s_wait_loadcnt 0x0
	v_cmp_eq_u64_e32 vcc_lo, v[2:3], v[4:5]
	v_mov_b64_e32 v[4:5], v[2:3]
	s_or_b32 s4, vcc_lo, s4
	s_delay_alu instid0(SALU_CYCLE_1)
	s_and_not1_b32 exec_lo, exec_lo, s4
	s_cbranch_execnz .LBB1_398
.LBB1_399:
	s_or_b32 exec_lo, exec_lo, s7
.LBB1_400:
	s_delay_alu instid0(SALU_CYCLE_1)
	s_or_b32 exec_lo, exec_lo, s6
	v_mov_b64_e32 v[2:3], v[6:7]
	s_mov_b32 s0, 0
.LBB1_401:                              ; =>This Inner Loop Header: Depth=1
	global_load_u8 v4, v[2:3], off
	s_wait_xcnt 0x0
	v_add_nc_u64_e32 v[2:3], 1, v[2:3]
	s_wait_loadcnt 0x0
	v_cmp_eq_u16_e32 vcc_lo, 0, v4
	s_or_b32 s0, vcc_lo, s0
	s_delay_alu instid0(SALU_CYCLE_1)
	s_and_not1_b32 exec_lo, exec_lo, s0
	s_cbranch_execnz .LBB1_401
; %bb.402:
	s_or_b32 exec_lo, exec_lo, s0
	v_dual_mov_b32 v3, v7 :: v_dual_sub_nc_u32 v4, v2, v6
	s_get_pc_i64 s[0:1]
	s_add_nc_u64 s[0:1], s[0:1], __ockl_fprintf_append_string_n@rel64+4
	v_dual_mov_b32 v2, v6 :: v_dual_mov_b32 v6, 1
	s_delay_alu instid0(VALU_DEP_2)
	v_ashrrev_i32_e32 v5, 31, v4
	s_swap_pc_i64 s[30:31], s[0:1]
	s_trap 2
.Lfunc_end1:
	.size	__assert_fail, .Lfunc_end1-__assert_fail
                                        ; -- End function
	.set .L__assert_fail.num_vgpr, max(55, .L__ockl_fprintf_append_string_n.num_vgpr)
	.set .L__assert_fail.num_agpr, max(0, .L__ockl_fprintf_append_string_n.num_agpr)
	.set .L__assert_fail.numbered_sgpr, max(34, .L__ockl_fprintf_append_string_n.numbered_sgpr)
	.set .L__assert_fail.num_named_barrier, max(0, .L__ockl_fprintf_append_string_n.num_named_barrier)
	.set .L__assert_fail.private_seg_size, 64+max(.L__ockl_fprintf_append_string_n.private_seg_size)
	.set .L__assert_fail.uses_vcc, or(1, .L__ockl_fprintf_append_string_n.uses_vcc)
	.set .L__assert_fail.uses_flat_scratch, or(1, .L__ockl_fprintf_append_string_n.uses_flat_scratch)
	.set .L__assert_fail.has_dyn_sized_stack, or(0, .L__ockl_fprintf_append_string_n.has_dyn_sized_stack)
	.set .L__assert_fail.has_recursion, or(0, .L__ockl_fprintf_append_string_n.has_recursion)
	.set .L__assert_fail.has_indirect_call, or(0, .L__ockl_fprintf_append_string_n.has_indirect_call)
	.section	.AMDGPU.csdata,"",@progbits
; Function info:
; codeLenInByte = 16056
; TotalNumSgprs: 36
; NumVgprs: 55
; ScratchSize: 64
; MemoryBound: 0
	.text
	.p2align	2                               ; -- Begin function _ZN3sop14minatoIsop5RecEjjiPNS_3SopEP7VecsMemIjLi8192EE
	.type	_ZN3sop14minatoIsop5RecEjjiPNS_3SopEP7VecsMemIjLi8192EE,@function
_ZN3sop14minatoIsop5RecEjjiPNS_3SopEP7VecsMemIjLi8192EE: ; @_ZN3sop14minatoIsop5RecEjjiPNS_3SopEP7VecsMemIjLi8192EE
; %bb.0:
	s_wait_loadcnt_dscnt 0x0
	s_wait_kmcnt 0x0
	s_mov_b32 s0, s33
	s_mov_b32 s33, s32
	s_or_saveexec_b32 s1, -1
	scratch_store_b32 off, v72, s33 offset:112 ; 4-byte Folded Spill
	s_wait_xcnt 0x0
	s_mov_b32 exec_lo, s1
	v_writelane_b32 v72, s0, 13
	s_addk_co_i32 s32, 0x80
	s_clause 0xf
	scratch_store_b32 off, v40, s33 offset:60
	; meta instruction
	scratch_store_b32 off, v41, s33 offset:56
	; meta instruction
	;; [unrolled: 2-line block ×15, first 2 shown]
	scratch_store_b32 off, v63, s33
	v_writelane_b32 v72, s34, 0
	v_writelane_b32 v72, s35, 1
	;; [unrolled: 1-line block ×13, first 2 shown]
	s_wait_xcnt 0x6
	v_dual_mov_b32 v57, v6 :: v_dual_mov_b32 v56, v5
	v_dual_mov_b32 v47, v4 :: v_dual_mov_b32 v46, v3
	v_bitop3_b32 v3, v0, v1, v0 bitop3:0x30
	s_mov_b64 s[34:35], s[8:9]
	s_mov_b32 s17, 0
	s_mov_b32 s36, 0
	s_mov_b32 s0, exec_lo
	s_wait_xcnt 0x0
	v_cmpx_ne_u32_e32 0, v3
	s_xor_b32 s18, exec_lo, s0
                                        ; implicit-def: $vgpr65_vgpr66
	s_cbranch_execz .LBB2_2
; %bb.1:
	s_get_pc_i64 s[0:1]
	s_add_nc_u64 s[0:1], s[0:1], .str.27@rel64+4
	s_get_pc_i64 s[2:3]
	s_add_nc_u64 s[2:3], s[2:3], .str.16@rel64+4
	s_get_pc_i64 s[4:5]
	s_add_nc_u64 s[4:5], s[4:5], __PRETTY_FUNCTION__._ZN3sop14minatoIsop5RecEjjiPNS_3SopEP7VecsMemIjLi8192EE@rel64+4
	v_dual_mov_b32 v0, s0 :: v_dual_mov_b32 v1, s1
	v_dual_mov_b32 v2, s2 :: v_dual_mov_b32 v3, s3
	;; [unrolled: 1-line block ×3, first 2 shown]
	v_mov_b32_e32 v6, s5
	s_get_pc_i64 s[6:7]
	s_add_nc_u64 s[6:7], s[6:7], __assert_fail@rel64+4
	s_mov_b64 s[8:9], s[34:35]
	s_swap_pc_i64 s[30:31], s[6:7]
	s_mov_b32 s36, exec_lo
                                        ; implicit-def: $vgpr0
                                        ; implicit-def: $vgpr56
                                        ; implicit-def: $vgpr1
                                        ; implicit-def: $vgpr2
.LBB2_2:
	s_or_saveexec_b32 s37, s18
	s_mov_b32 s0, 0
                                        ; implicit-def: $vgpr64
                                        ; implicit-def: $vgpr55
	s_xor_b32 exec_lo, exec_lo, s37
	s_cbranch_execz .LBB2_7
; %bb.3:
	s_mov_b32 s1, -1
	s_mov_b32 s2, s36
	s_mov_b32 s38, exec_lo
                                        ; implicit-def: $vgpr64
                                        ; implicit-def: $vgpr55
	v_cmpx_ne_u32_e32 0, v0
	s_cbranch_execz .LBB2_406
; %bb.4:
	s_mov_b32 s0, -1
	s_mov_b32 s18, 0
	s_mov_b32 s17, s36
                                        ; implicit-def: $vgpr64
                                        ; implicit-def: $vgpr55
	s_mov_b32 s1, exec_lo
	v_cmpx_ne_u32_e32 -1, v1
	s_xor_b32 s39, exec_lo, s1
	s_cbranch_execz .LBB2_266
; %bb.5:
	s_mov_b32 s17, 0
	s_mov_b32 s10, exec_lo
                                        ; implicit-def: $vgpr66
                                        ; implicit-def: $vgpr41
                                        ; implicit-def: $vgpr65
                                        ; implicit-def: $vgpr67
	v_cmpx_lt_i32_e32 0, v2
	s_cbranch_execz .LBB2_46
; %bb.6:
	v_dual_lshrrev_b32 v4, 8, v0 :: v_dual_lshrrev_b32 v5, 4, v0
	v_dual_lshrrev_b32 v6, 2, v0 :: v_dual_lshrrev_b32 v7, 1, v0
	v_and_b32_e32 v3, 0xffff, v0
	s_delay_alu instid0(VALU_DEP_3) | instskip(NEXT) | instid1(VALU_DEP_4)
	v_bitop3_b32 v4, v4, 0xff00ff, v0 bitop3:0x48
	v_bitop3_b32 v5, v5, 0xf0f0f0f, v0 bitop3:0x48
	s_delay_alu instid0(VALU_DEP_4)
	v_bitop3_b32 v6, v6, 0x33333333, v0 bitop3:0x48
	v_bitop3_b32 v7, v7, 0x55555555, v0 bitop3:0x48
	v_lshrrev_b32_e32 v67, 16, v0
	v_cmp_eq_u32_e64 s0, 0, v4
	v_cmp_eq_u32_e64 s1, 0, v5
	;; [unrolled: 1-line block ×4, first 2 shown]
	v_dual_lshrrev_b32 v4, 8, v1 :: v_dual_lshrrev_b32 v5, 4, v1
	v_dual_lshrrev_b32 v6, 2, v1 :: v_dual_lshrrev_b32 v7, 1, v1
	v_lshrrev_b32_e32 v65, 16, v1
	v_cmp_eq_u32_e32 vcc_lo, v3, v67
	v_and_b32_e32 v3, 0xffff, v1
	v_bitop3_b32 v4, v4, 0xff00ff, v1 bitop3:0x48
	v_bitop3_b32 v5, v5, 0xf0f0f0f, v1 bitop3:0x48
	;; [unrolled: 1-line block ×4, first 2 shown]
	v_cmp_eq_u32_e64 s4, v3, v65
	v_cmp_eq_u32_e64 s5, 0, v4
	;; [unrolled: 1-line block ×5, first 2 shown]
	s_mov_b32 s12, 0
                                        ; implicit-def: $sgpr11
	s_branch .LBB2_11
.LBB2_7:
	s_or_b32 exec_lo, exec_lo, s37
	s_and_saveexec_b32 s1, s36
	s_delay_alu instid0(SALU_CYCLE_1)
	s_xor_b32 s1, exec_lo, s1
	s_cbranch_execz .LBB2_407
.LBB2_8:
	; divergent unreachable
	s_or_b32 exec_lo, exec_lo, s1
	s_and_saveexec_b32 s1, s17
	s_cbranch_execnz .LBB2_408
	s_branch .LBB2_409
.LBB2_9:                                ;   in Loop: Header=BB2_11 Depth=1
	s_or_b32 exec_lo, exec_lo, s16
	v_mov_b32_e32 v41, v2
	s_or_not1_b32 s15, s15, exec_lo
	s_or_not1_b32 s9, s9, exec_lo
.LBB2_10:                               ;   in Loop: Header=BB2_11 Depth=1
	s_or_b32 exec_lo, exec_lo, s13
	s_xor_b32 s13, s15, -1
	s_and_b32 s9, exec_lo, s9
	s_delay_alu instid0(SALU_CYCLE_1) | instskip(SKIP_2) | instid1(SALU_CYCLE_1)
	s_or_b32 s12, s9, s12
	s_and_not1_b32 s9, s11, exec_lo
	s_and_b32 s11, s13, exec_lo
	s_or_b32 s11, s9, s11
	s_and_not1_b32 exec_lo, exec_lo, s12
	s_cbranch_execz .LBB2_209
.LBB2_11:                               ; =>This Inner Loop Header: Depth=1
	v_mov_b32_e32 v3, v2
	s_mov_b32 s14, 0
	s_mov_b32 s13, exec_lo
                                        ; implicit-def: $vgpr41
                                        ; implicit-def: $vgpr66
	s_delay_alu instid0(VALU_DEP_1)
	v_add_nc_u32_e32 v2, -1, v3
	v_cmpx_lt_i32_e32 3, v3
	s_xor_b32 s13, exec_lo, s13
	s_cbranch_execz .LBB2_17
; %bb.12:                               ;   in Loop: Header=BB2_11 Depth=1
	v_cmp_lt_i32_e64 s9, 4, v3
	s_and_saveexec_b32 s15, s9
	s_delay_alu instid0(SALU_CYCLE_1)
	s_xor_b32 s9, exec_lo, s15
; %bb.13:                               ;   in Loop: Header=BB2_11 Depth=1
	s_and_b32 s14, vcc_lo, exec_lo
; %bb.14:                               ;   in Loop: Header=BB2_11 Depth=1
	s_or_saveexec_b32 s9, s9
	v_dual_mov_b32 v66, 5 :: v_dual_mov_b32 v41, 4
	s_xor_b32 exec_lo, exec_lo, s9
; %bb.15:                               ;   in Loop: Header=BB2_11 Depth=1
	v_dual_mov_b32 v66, 4 :: v_dual_mov_b32 v41, v2
	s_and_not1_b32 s14, s14, exec_lo
	s_and_b32 s15, s0, exec_lo
	s_delay_alu instid0(SALU_CYCLE_1)
	s_or_b32 s14, s14, s15
; %bb.16:                               ;   in Loop: Header=BB2_11 Depth=1
	s_or_b32 exec_lo, exec_lo, s9
	s_delay_alu instid0(SALU_CYCLE_1)
	s_and_b32 s14, s14, exec_lo
.LBB2_17:                               ;   in Loop: Header=BB2_11 Depth=1
	s_and_not1_saveexec_b32 s13, s13
	s_cbranch_execz .LBB2_27
; %bb.18:                               ;   in Loop: Header=BB2_11 Depth=1
	v_cmp_lt_i32_e64 s9, 2, v3
	s_mov_b32 s15, s14
	s_and_saveexec_b32 s16, s9
	s_delay_alu instid0(SALU_CYCLE_1)
	s_xor_b32 s9, exec_lo, s16
; %bb.19:                               ;   in Loop: Header=BB2_11 Depth=1
	s_and_not1_b32 s15, s14, exec_lo
	s_and_b32 s16, s1, exec_lo
	s_delay_alu instid0(SALU_CYCLE_1)
	s_or_b32 s15, s15, s16
; %bb.20:                               ;   in Loop: Header=BB2_11 Depth=1
	s_or_saveexec_b32 s16, s9
	v_mov_b32_e32 v66, 3
	s_xor_b32 exec_lo, exec_lo, s16
	s_cbranch_execz .LBB2_26
; %bb.21:                               ;   in Loop: Header=BB2_11 Depth=1
	v_cmp_ne_u32_e64 s9, 2, v3
	s_mov_b32 s17, s15
	s_and_saveexec_b32 s18, s9
	s_delay_alu instid0(SALU_CYCLE_1)
	s_xor_b32 s9, exec_lo, s18
; %bb.22:                               ;   in Loop: Header=BB2_11 Depth=1
	s_and_not1_b32 s17, s15, exec_lo
	s_and_b32 s18, s3, exec_lo
	s_delay_alu instid0(SALU_CYCLE_1)
	s_or_b32 s17, s17, s18
; %bb.23:                               ;   in Loop: Header=BB2_11 Depth=1
	s_or_saveexec_b32 s9, s9
	v_mov_b32_e32 v66, 1
	s_xor_b32 exec_lo, exec_lo, s9
; %bb.24:                               ;   in Loop: Header=BB2_11 Depth=1
	v_mov_b32_e32 v66, 2
	s_and_not1_b32 s17, s17, exec_lo
	s_and_b32 s18, s2, exec_lo
	s_delay_alu instid0(SALU_CYCLE_1)
	s_or_b32 s17, s17, s18
; %bb.25:                               ;   in Loop: Header=BB2_11 Depth=1
	s_or_b32 exec_lo, exec_lo, s9
	s_delay_alu instid0(SALU_CYCLE_1) | instskip(SKIP_1) | instid1(SALU_CYCLE_1)
	s_and_not1_b32 s9, s15, exec_lo
	s_and_b32 s15, s17, exec_lo
	s_or_b32 s15, s9, s15
.LBB2_26:                               ;   in Loop: Header=BB2_11 Depth=1
	s_or_b32 exec_lo, exec_lo, s16
	v_mov_b32_e32 v41, v2
	s_and_not1_b32 s9, s14, exec_lo
	s_and_b32 s14, s15, exec_lo
	s_delay_alu instid0(SALU_CYCLE_1)
	s_or_b32 s14, s9, s14
.LBB2_27:                               ;   in Loop: Header=BB2_11 Depth=1
	s_or_b32 exec_lo, exec_lo, s13
	s_mov_b32 s9, -1
	s_mov_b32 s15, -1
	s_and_saveexec_b32 s13, s14
	s_cbranch_execz .LBB2_10
; %bb.28:                               ;   in Loop: Header=BB2_11 Depth=1
	s_mov_b32 s14, 0
	s_mov_b32 s15, exec_lo
                                        ; implicit-def: $vgpr66
	v_cmpx_lt_i32_e32 3, v3
	s_xor_b32 s15, exec_lo, s15
	s_cbranch_execz .LBB2_34
; %bb.29:                               ;   in Loop: Header=BB2_11 Depth=1
	v_cmp_lt_i32_e64 s9, 4, v3
	s_and_saveexec_b32 s16, s9
	s_delay_alu instid0(SALU_CYCLE_1)
	s_xor_b32 s9, exec_lo, s16
; %bb.30:                               ;   in Loop: Header=BB2_11 Depth=1
	s_and_b32 s14, s4, exec_lo
; %bb.31:                               ;   in Loop: Header=BB2_11 Depth=1
	s_or_saveexec_b32 s9, s9
	v_mov_b32_e32 v66, 5
	s_xor_b32 exec_lo, exec_lo, s9
; %bb.32:                               ;   in Loop: Header=BB2_11 Depth=1
	v_mov_b32_e32 v66, 4
	s_and_not1_b32 s14, s14, exec_lo
	s_and_b32 s16, s5, exec_lo
	s_delay_alu instid0(SALU_CYCLE_1)
	s_or_b32 s14, s14, s16
; %bb.33:                               ;   in Loop: Header=BB2_11 Depth=1
	s_or_b32 exec_lo, exec_lo, s9
	s_delay_alu instid0(SALU_CYCLE_1)
	s_and_b32 s14, s14, exec_lo
.LBB2_34:                               ;   in Loop: Header=BB2_11 Depth=1
	s_and_not1_saveexec_b32 s15, s15
	s_cbranch_execz .LBB2_44
; %bb.35:                               ;   in Loop: Header=BB2_11 Depth=1
	v_cmp_lt_i32_e64 s9, 2, v3
	s_mov_b32 s16, s14
	s_and_saveexec_b32 s17, s9
	s_delay_alu instid0(SALU_CYCLE_1)
	s_xor_b32 s9, exec_lo, s17
; %bb.36:                               ;   in Loop: Header=BB2_11 Depth=1
	s_and_not1_b32 s16, s14, exec_lo
	s_and_b32 s17, s6, exec_lo
	s_delay_alu instid0(SALU_CYCLE_1)
	s_or_b32 s16, s16, s17
; %bb.37:                               ;   in Loop: Header=BB2_11 Depth=1
	s_or_saveexec_b32 s17, s9
	v_mov_b32_e32 v66, 3
	s_xor_b32 exec_lo, exec_lo, s17
	s_cbranch_execz .LBB2_43
; %bb.38:                               ;   in Loop: Header=BB2_11 Depth=1
	v_cmp_ne_u32_e64 s9, 2, v3
	s_mov_b32 s18, s16
	s_and_saveexec_b32 s19, s9
	s_delay_alu instid0(SALU_CYCLE_1)
	s_xor_b32 s9, exec_lo, s19
; %bb.39:                               ;   in Loop: Header=BB2_11 Depth=1
	s_and_not1_b32 s18, s16, exec_lo
	s_and_b32 s19, s8, exec_lo
	s_delay_alu instid0(SALU_CYCLE_1)
	s_or_b32 s18, s18, s19
; %bb.40:                               ;   in Loop: Header=BB2_11 Depth=1
	s_or_saveexec_b32 s9, s9
	v_mov_b32_e32 v66, 1
	s_xor_b32 exec_lo, exec_lo, s9
; %bb.41:                               ;   in Loop: Header=BB2_11 Depth=1
	v_mov_b32_e32 v66, 2
	s_and_not1_b32 s18, s18, exec_lo
	s_and_b32 s19, s7, exec_lo
	s_delay_alu instid0(SALU_CYCLE_1)
	s_or_b32 s18, s18, s19
; %bb.42:                               ;   in Loop: Header=BB2_11 Depth=1
	s_or_b32 exec_lo, exec_lo, s9
	s_delay_alu instid0(SALU_CYCLE_1) | instskip(SKIP_1) | instid1(SALU_CYCLE_1)
	s_and_not1_b32 s9, s16, exec_lo
	s_and_b32 s16, s18, exec_lo
	s_or_b32 s16, s9, s16
.LBB2_43:                               ;   in Loop: Header=BB2_11 Depth=1
	s_or_b32 exec_lo, exec_lo, s17
	s_delay_alu instid0(SALU_CYCLE_1) | instskip(SKIP_1) | instid1(SALU_CYCLE_1)
	s_and_not1_b32 s9, s14, exec_lo
	s_and_b32 s14, s16, exec_lo
	s_or_b32 s14, s9, s14
.LBB2_44:                               ;   in Loop: Header=BB2_11 Depth=1
	s_or_b32 exec_lo, exec_lo, s15
	s_mov_b32 s9, -1
	s_mov_b32 s15, -1
	s_and_saveexec_b32 s16, s14
	s_cbranch_execz .LBB2_9
; %bb.45:                               ;   in Loop: Header=BB2_11 Depth=1
	v_cmp_gt_u32_e64 s9, 2, v3
	s_xor_b32 s15, exec_lo, -1
	s_or_not1_b32 s9, s9, exec_lo
	s_branch .LBB2_9
.LBB2_46:
	s_or_b32 exec_lo, exec_lo, s10
	s_mov_b32 s48, s36
	s_and_saveexec_b32 s18, s0
	s_cbranch_execz .LBB2_48
.LBB2_47:
	s_get_pc_i64 s[0:1]
	s_add_nc_u64 s[0:1], s[0:1], .str.21@rel64+4
	s_get_pc_i64 s[2:3]
	s_add_nc_u64 s[2:3], s[2:3], .str.16@rel64+4
	s_get_pc_i64 s[4:5]
	s_add_nc_u64 s[4:5], s[4:5], __PRETTY_FUNCTION__._ZN3sop14minatoIsop5RecEjjiPNS_3SopEP7VecsMemIjLi8192EE@rel64+4
	v_dual_mov_b32 v55, v0 :: v_dual_mov_b32 v0, s0
	v_dual_mov_b32 v64, v1 :: v_dual_mov_b32 v1, s1
	;; [unrolled: 1-line block ×4, first 2 shown]
	v_mov_b32_e32 v6, s5
	s_get_pc_i64 s[6:7]
	s_add_nc_u64 s[6:7], s[6:7], __assert_fail@rel64+4
	s_mov_b64 s[8:9], s[34:35]
	s_swap_pc_i64 s[30:31], s[6:7]
	v_dual_mov_b32 v0, v55 :: v_dual_mov_b32 v1, v64
	s_or_b32 s48, s36, exec_lo
	s_and_not1_b32 s17, s17, exec_lo
.LBB2_48:
	s_or_b32 exec_lo, exec_lo, s18
	s_mov_b32 s0, 0
                                        ; implicit-def: $vgpr64
                                        ; implicit-def: $vgpr55
	s_and_saveexec_b32 s49, s17
	s_cbranch_execz .LBB2_265
; %bb.49:
	s_mov_b32 s0, exec_lo
                                        ; implicit-def: $vgpr2
                                        ; implicit-def: $vgpr3
	v_cmpx_lt_i32_e32 3, v66
	s_xor_b32 s0, exec_lo, s0
	s_cbranch_execz .LBB2_53
; %bb.50:
	v_mov_b32_e32 v3, 0xffff
	v_mov_b32_e32 v2, 0x10001
	s_mov_b32 s1, exec_lo
	v_cmpx_gt_i32_e32 5, v66
; %bb.51:
	v_mov_b32_e32 v3, 0xff00ff
	v_mov_b32_e32 v2, 0x101
; %bb.52:
	s_or_b32 exec_lo, exec_lo, s1
.LBB2_53:
	s_and_not1_saveexec_b32 s0, s0
	s_cbranch_execz .LBB2_59
; %bb.54:
	s_mov_b32 s1, exec_lo
	v_cmpx_lt_i32_e32 2, v66
	s_xor_b32 s1, exec_lo, s1
	s_delay_alu instid0(SALU_CYCLE_1)
	s_or_saveexec_b32 s1, s1
	v_dual_mov_b32 v3, 0xf0f0f0f :: v_dual_mov_b32 v2, 17
	s_xor_b32 exec_lo, exec_lo, s1
	s_cbranch_execz .LBB2_58
; %bb.55:
	s_mov_b32 s2, exec_lo
	v_cmpx_ne_u32_e32 2, v66
	s_xor_b32 s2, exec_lo, s2
	s_delay_alu instid0(SALU_CYCLE_1)
	s_or_saveexec_b32 s2, s2
	v_dual_mov_b32 v3, 0x55555555 :: v_dual_mov_b32 v2, 3
	s_xor_b32 exec_lo, exec_lo, s2
; %bb.56:
	v_dual_mov_b32 v3, 0x33333333 :: v_dual_mov_b32 v2, 5
; %bb.57:
	s_or_b32 exec_lo, exec_lo, s2
.LBB2_58:
	s_delay_alu instid0(SALU_CYCLE_1)
	s_or_b32 exec_lo, exec_lo, s1
.LBB2_59:
	s_delay_alu instid0(SALU_CYCLE_1) | instskip(NEXT) | instid1(SALU_CYCLE_1)
	s_or_b32 exec_lo, exec_lo, s0
	s_mov_b32 s0, exec_lo
                                        ; implicit-def: $vgpr58
	v_cmpx_lt_i32_e32 3, v66
	s_xor_b32 s0, exec_lo, s0
	s_cbranch_execz .LBB2_65
; %bb.60:
	s_mov_b32 s1, exec_lo
                                        ; implicit-def: $vgpr58
	v_cmpx_lt_i32_e32 4, v66
	s_xor_b32 s1, exec_lo, s1
; %bb.61:
	v_and_or_b32 v58, 0xffff0000, v0, v67
; %bb.62:
	s_and_not1_saveexec_b32 s1, s1
; %bb.63:
	v_and_b32_e32 v4, 0xff00ff00, v0
	s_delay_alu instid0(VALU_DEP_1) | instskip(NEXT) | instid1(VALU_DEP_1)
	v_lshrrev_b32_e32 v5, 8, v4
	v_or_b32_e32 v58, v5, v4
; %bb.64:
	s_or_b32 exec_lo, exec_lo, s1
.LBB2_65:
	s_and_not1_saveexec_b32 s0, s0
	s_cbranch_execz .LBB2_75
; %bb.66:
	s_mov_b32 s1, exec_lo
                                        ; implicit-def: $vgpr58
	v_cmpx_lt_i32_e32 2, v66
	s_xor_b32 s1, exec_lo, s1
; %bb.67:
	v_and_b32_e32 v4, 0xf0f0f0f0, v0
	s_delay_alu instid0(VALU_DEP_1) | instskip(NEXT) | instid1(VALU_DEP_1)
	v_lshrrev_b32_e32 v5, 4, v4
	v_or_b32_e32 v58, v5, v4
; %bb.68:
	s_and_not1_saveexec_b32 s1, s1
	s_cbranch_execz .LBB2_74
; %bb.69:
	s_mov_b32 s2, exec_lo
                                        ; implicit-def: $vgpr58
	v_cmpx_ne_u32_e32 2, v66
	s_xor_b32 s2, exec_lo, s2
; %bb.70:
	v_and_b32_e32 v4, 0xaaaaaaaa, v0
	s_delay_alu instid0(VALU_DEP_1) | instskip(NEXT) | instid1(VALU_DEP_1)
	v_lshrrev_b32_e32 v5, 1, v4
	v_or_b32_e32 v58, v5, v4
; %bb.71:
	s_and_not1_saveexec_b32 s2, s2
; %bb.72:
	v_and_b32_e32 v4, 0xcccccccc, v0
	s_delay_alu instid0(VALU_DEP_1) | instskip(NEXT) | instid1(VALU_DEP_1)
	v_lshrrev_b32_e32 v5, 2, v4
	v_or_b32_e32 v58, v5, v4
; %bb.73:
	s_or_b32 exec_lo, exec_lo, s2
.LBB2_74:
	s_delay_alu instid0(SALU_CYCLE_1)
	s_or_b32 exec_lo, exec_lo, s1
.LBB2_75:
	s_delay_alu instid0(SALU_CYCLE_1) | instskip(NEXT) | instid1(SALU_CYCLE_1)
	s_or_b32 exec_lo, exec_lo, s0
	s_mov_b32 s0, exec_lo
                                        ; implicit-def: $vgpr4
                                        ; implicit-def: $vgpr5
	v_cmpx_lt_i32_e32 3, v66
	s_xor_b32 s0, exec_lo, s0
	s_cbranch_execz .LBB2_79
; %bb.76:
	v_mov_b32_e32 v5, 0xffff
	v_mov_b32_e32 v4, 0x10001
	s_mov_b32 s1, exec_lo
	v_cmpx_gt_i32_e32 5, v66
; %bb.77:
	v_mov_b32_e32 v5, 0xff00ff
	v_mov_b32_e32 v4, 0x101
; %bb.78:
	s_or_b32 exec_lo, exec_lo, s1
.LBB2_79:
	s_and_not1_saveexec_b32 s0, s0
	s_cbranch_execz .LBB2_85
; %bb.80:
	s_mov_b32 s1, exec_lo
	v_cmpx_lt_i32_e32 2, v66
	s_xor_b32 s1, exec_lo, s1
	s_delay_alu instid0(SALU_CYCLE_1)
	s_or_saveexec_b32 s1, s1
	v_dual_mov_b32 v5, 0xf0f0f0f :: v_dual_mov_b32 v4, 17
	s_xor_b32 exec_lo, exec_lo, s1
	s_cbranch_execz .LBB2_84
; %bb.81:
	s_mov_b32 s2, exec_lo
	v_cmpx_ne_u32_e32 2, v66
	s_xor_b32 s2, exec_lo, s2
	s_delay_alu instid0(SALU_CYCLE_1)
	s_or_saveexec_b32 s2, s2
	v_dual_mov_b32 v5, 0x55555555 :: v_dual_mov_b32 v4, 3
	s_xor_b32 exec_lo, exec_lo, s2
; %bb.82:
	v_dual_mov_b32 v5, 0x33333333 :: v_dual_mov_b32 v4, 5
; %bb.83:
	s_or_b32 exec_lo, exec_lo, s2
.LBB2_84:
	s_delay_alu instid0(SALU_CYCLE_1)
	s_or_b32 exec_lo, exec_lo, s1
.LBB2_85:
	s_delay_alu instid0(SALU_CYCLE_1) | instskip(NEXT) | instid1(SALU_CYCLE_1)
	s_or_b32 exec_lo, exec_lo, s0
	s_mov_b32 s0, exec_lo
                                        ; implicit-def: $vgpr40
	v_cmpx_lt_i32_e32 3, v66
	s_xor_b32 s0, exec_lo, s0
	s_cbranch_execz .LBB2_91
; %bb.86:
	s_mov_b32 s1, exec_lo
                                        ; implicit-def: $vgpr40
	v_cmpx_lt_i32_e32 4, v66
	s_xor_b32 s1, exec_lo, s1
; %bb.87:
	v_and_or_b32 v40, 0xffff0000, v1, v65
; %bb.88:
	s_and_not1_saveexec_b32 s1, s1
; %bb.89:
	v_and_b32_e32 v6, 0xff00ff00, v1
	s_delay_alu instid0(VALU_DEP_1) | instskip(NEXT) | instid1(VALU_DEP_1)
	v_lshrrev_b32_e32 v7, 8, v6
	v_or_b32_e32 v40, v7, v6
; %bb.90:
	s_or_b32 exec_lo, exec_lo, s1
                                        ; implicit-def: $vgpr66
.LBB2_91:
	s_and_not1_saveexec_b32 s0, s0
	s_cbranch_execz .LBB2_101
; %bb.92:
	s_mov_b32 s1, exec_lo
                                        ; implicit-def: $vgpr40
	v_cmpx_lt_i32_e32 2, v66
	s_xor_b32 s1, exec_lo, s1
; %bb.93:
	v_and_b32_e32 v6, 0xf0f0f0f0, v1
                                        ; implicit-def: $vgpr66
	s_delay_alu instid0(VALU_DEP_1) | instskip(NEXT) | instid1(VALU_DEP_1)
	v_lshrrev_b32_e32 v7, 4, v6
	v_or_b32_e32 v40, v7, v6
; %bb.94:
	s_and_not1_saveexec_b32 s1, s1
	s_cbranch_execz .LBB2_100
; %bb.95:
	s_mov_b32 s2, exec_lo
                                        ; implicit-def: $vgpr40
	v_cmpx_ne_u32_e32 2, v66
	s_xor_b32 s2, exec_lo, s2
; %bb.96:
	v_and_b32_e32 v6, 0xaaaaaaaa, v1
	s_delay_alu instid0(VALU_DEP_1) | instskip(NEXT) | instid1(VALU_DEP_1)
	v_lshrrev_b32_e32 v7, 1, v6
	v_or_b32_e32 v40, v7, v6
; %bb.97:
	s_and_not1_saveexec_b32 s2, s2
; %bb.98:
	v_and_b32_e32 v6, 0xcccccccc, v1
	s_delay_alu instid0(VALU_DEP_1) | instskip(NEXT) | instid1(VALU_DEP_1)
	v_lshrrev_b32_e32 v7, 2, v6
	v_or_b32_e32 v40, v7, v6
; %bb.99:
	s_or_b32 exec_lo, exec_lo, s2
.LBB2_100:
	s_delay_alu instid0(SALU_CYCLE_1)
	s_or_b32 exec_lo, exec_lo, s1
.LBB2_101:
	s_delay_alu instid0(SALU_CYCLE_1) | instskip(SKIP_2) | instid1(SALU_CYCLE_1)
	s_or_b32 exec_lo, exec_lo, s0
	v_mbcnt_lo_u32_b32 v45, -1, 0
	s_add_co_i32 s0, s33, 64
	v_dual_mov_b32 v6, s0 :: v_dual_bitop2_b32 v0, v3, v0 bitop3:0x40
	s_add_co_i32 s0, s33, 0x50
	s_delay_alu instid0(VALU_DEP_2)
	v_lshlrev_b32_e32 v7, 20, v45
	s_get_pc_i64 s[52:53]
	s_add_nc_u64 s[52:53], s[52:53], _ZN3sop14minatoIsop5RecEjjiPNS_3SopEP7VecsMemIjLi8192EE@rel64+4
	v_mul_lo_u32 v59, v0, v2
	v_mov_b32_e32 v2, v41
	s_mov_b64 s[8:9], s[34:35]
	v_add_nc_u64_e32 v[8:9], src_flat_scratch_base_lo, v[6:7]
	v_mov_b32_e32 v6, s0
	s_add_co_i32 s0, s33, 0x60
	v_dual_mov_b32 v5, v56 :: v_dual_bitop2_b32 v1, v5, v1 bitop3:0x40
	s_mov_b32 s50, 0
	s_delay_alu instid0(VALU_DEP_2) | instskip(SKIP_1) | instid1(VALU_DEP_3)
	v_add_nc_u64_e32 v[60:61], src_flat_scratch_base_lo, v[6:7]
	v_mov_b32_e32 v6, s0
	v_mul_lo_u32 v44, v1, v4
	v_bitop3_b32 v0, v59, v40, v59 bitop3:0x30
	v_dual_mov_b32 v4, v9 :: v_dual_mov_b32 v3, v8
	s_delay_alu instid0(VALU_DEP_4) | instskip(NEXT) | instid1(VALU_DEP_4)
	v_add_nc_u64_e32 v[62:63], src_flat_scratch_base_lo, v[6:7]
	v_dual_mov_b32 v6, v57 :: v_dual_mov_b32 v1, v44
	s_swap_pc_i64 s[30:31], s[52:53]
	v_dual_mov_b32 v42, v0 :: v_dual_mov_b32 v1, v40
	v_bitop3_b32 v0, v58, v44, v58 bitop3:0x30
	v_dual_mov_b32 v2, v41 :: v_dual_mov_b32 v3, v60
	v_dual_mov_b32 v4, v61 :: v_dual_mov_b32 v5, v56
	v_mov_b32_e32 v6, v57
	s_mov_b64 s[8:9], s[34:35]
	s_swap_pc_i64 s[30:31], s[52:53]
	v_dual_mov_b32 v43, v0 :: v_dual_mov_b32 v2, v41
	v_bitop3_b32 v0, v59, v42, v59 bitop3:0x30
	v_dual_mov_b32 v3, v62 :: v_dual_bitop2_b32 v1, v44, v40 bitop3:0x40
	v_dual_mov_b32 v4, v63 :: v_dual_mov_b32 v5, v56
	s_delay_alu instid0(VALU_DEP_3)
	v_bitop3_b32 v0, v58, v0, v43 bitop3:0xdc
	v_mov_b32_e32 v6, v57
	s_mov_b64 s[8:9], s[34:35]
	s_swap_pc_i64 s[30:31], s[52:53]
	s_clause 0x2
	scratch_load_b64 v[70:71], off, s33 offset:64
	scratch_load_b64 v[66:67], off, s33 offset:80
	;; [unrolled: 1-line block ×3, first 2 shown]
	v_mov_b64_e32 v[68:69], 0
	s_mov_b32 s0, -1
	s_mov_b32 s19, s48
	s_mov_b32 s17, exec_lo
	s_wait_loadcnt 0x1
	v_add_nc_u32_e32 v1, v67, v71
	s_wait_loadcnt 0x0
	s_delay_alu instid0(VALU_DEP_1) | instskip(NEXT) | instid1(VALU_DEP_1)
	v_dual_add_nc_u32 v2, v1, v70 :: v_dual_add_nc_u32 v3, v1, v65
	v_add3_u32 v2, v2, v66, v64
	flat_store_b64 v[46:47], v[2:3]
	s_wait_xcnt 0x0
	v_cmpx_lt_i32_e32 0, v3
	s_cbranch_execz .LBB2_242
; %bb.102:
	flat_load_b32 v1, v[56:57]
	v_mov_b64_e32 v[68:69], 0
	s_mov_b32 s18, 0
	s_mov_b32 s0, exec_lo
	s_wait_loadcnt_dscnt 0x0
	v_add_nc_u32_e32 v2, v1, v3
	s_wait_xcnt 0x0
	s_delay_alu instid0(VALU_DEP_1)
	v_cmpx_gt_i32_e32 0x2001, v2
	s_xor_b32 s0, exec_lo, s0
	s_cbranch_execz .LBB2_104
; %bb.103:
	v_dual_mov_b32 v5, 0 :: v_dual_mov_b32 v4, v3
	v_ashrrev_i32_e32 v3, 31, v2
	s_mov_b32 s18, exec_lo
	flat_store_b32 v[56:57], v2
                                        ; implicit-def: $vgpr45
	v_lshlrev_b64_e32 v[4:5], 2, v[4:5]
	v_lshl_add_u64 v[6:7], v[2:3], 2, v[56:57]
	s_delay_alu instid0(VALU_DEP_1) | instskip(NEXT) | instid1(VALU_DEP_1)
	v_sub_nc_u64_e32 v[4:5], v[6:7], v[4:5]
	v_add_nc_u64_e32 v[68:69], 4, v[4:5]
.LBB2_104:
	s_wait_xcnt 0x0
	s_or_saveexec_b32 s19, s0
	s_mov_b32 s0, s48
	s_xor_b32 exec_lo, exec_lo, s19
	s_cbranch_execz .LBB2_241
; %bb.105:
	s_load_b64 s[2:3], s[34:35], 0x50
	v_readfirstlane_b32 s0, v45
	v_mov_b64_e32 v[4:5], 0
	s_delay_alu instid0(VALU_DEP_2)
	v_cmp_eq_u32_e64 s0, s0, v45
	s_and_saveexec_b32 s1, s0
	s_cbranch_execz .LBB2_111
; %bb.106:
	v_mov_b32_e32 v1, 0
	s_mov_b32 s4, exec_lo
	s_wait_kmcnt 0x0
	global_load_b64 v[6:7], v1, s[2:3] offset:24 scope:SCOPE_SYS
	s_wait_loadcnt 0x0
	global_inv scope:SCOPE_SYS
	s_clause 0x1
	global_load_b64 v[2:3], v1, s[2:3] offset:40
	global_load_b64 v[4:5], v1, s[2:3]
	s_wait_loadcnt 0x1
	v_and_b32_e32 v2, v2, v6
	v_and_b32_e32 v3, v3, v7
	s_delay_alu instid0(VALU_DEP_1) | instskip(SKIP_1) | instid1(VALU_DEP_1)
	v_mul_u64_e32 v[2:3], 24, v[2:3]
	s_wait_loadcnt 0x0
	v_add_nc_u64_e32 v[2:3], v[4:5], v[2:3]
	global_load_b64 v[4:5], v[2:3], off scope:SCOPE_SYS
	s_wait_xcnt 0x0
	s_wait_loadcnt 0x0
	global_atomic_cmpswap_b64 v[4:5], v1, v[4:7], s[2:3] offset:24 th:TH_ATOMIC_RETURN scope:SCOPE_SYS
	s_wait_loadcnt 0x0
	global_inv scope:SCOPE_SYS
	s_wait_xcnt 0x0
	v_cmpx_ne_u64_e64 v[4:5], v[6:7]
	s_cbranch_execz .LBB2_110
; %bb.107:
	s_mov_b32 s5, 0
.LBB2_108:                              ; =>This Inner Loop Header: Depth=1
	s_sleep 1
	s_clause 0x1
	global_load_b64 v[2:3], v1, s[2:3] offset:40
	global_load_b64 v[8:9], v1, s[2:3]
	v_mov_b64_e32 v[6:7], v[4:5]
	s_wait_loadcnt 0x1
	s_delay_alu instid0(VALU_DEP_1) | instskip(SKIP_1) | instid1(VALU_DEP_1)
	v_and_b32_e32 v2, v2, v6
	s_wait_loadcnt 0x0
	v_mad_nc_u64_u32 v[4:5], v2, 24, v[8:9]
	s_delay_alu instid0(VALU_DEP_3) | instskip(NEXT) | instid1(VALU_DEP_1)
	v_and_b32_e32 v2, v3, v7
	v_mad_u32 v5, v2, 24, v5
	global_load_b64 v[4:5], v[4:5], off scope:SCOPE_SYS
	s_wait_xcnt 0x0
	s_wait_loadcnt 0x0
	global_atomic_cmpswap_b64 v[4:5], v1, v[4:7], s[2:3] offset:24 th:TH_ATOMIC_RETURN scope:SCOPE_SYS
	s_wait_loadcnt 0x0
	global_inv scope:SCOPE_SYS
	v_cmp_eq_u64_e32 vcc_lo, v[4:5], v[6:7]
	s_or_b32 s5, vcc_lo, s5
	s_wait_xcnt 0x0
	s_and_not1_b32 exec_lo, exec_lo, s5
	s_cbranch_execnz .LBB2_108
; %bb.109:
	s_or_b32 exec_lo, exec_lo, s5
.LBB2_110:
	s_delay_alu instid0(SALU_CYCLE_1)
	s_or_b32 exec_lo, exec_lo, s4
.LBB2_111:
	s_delay_alu instid0(SALU_CYCLE_1)
	s_or_b32 exec_lo, exec_lo, s1
	v_readfirstlane_b32 s4, v4
	v_mov_b32_e32 v3, 0
	v_readfirstlane_b32 s5, v5
	s_mov_b32 s1, exec_lo
	s_wait_kmcnt 0x0
	s_clause 0x1
	global_load_b64 v[10:11], v3, s[2:3] offset:40
	global_load_b128 v[6:9], v3, s[2:3]
	s_wait_loadcnt 0x1
	v_and_b32_e32 v12, s4, v10
	v_and_b32_e32 v13, s5, v11
	s_delay_alu instid0(VALU_DEP_1) | instskip(SKIP_1) | instid1(VALU_DEP_1)
	v_mul_u64_e32 v[4:5], 24, v[12:13]
	s_wait_loadcnt 0x0
	v_add_nc_u64_e32 v[10:11], v[6:7], v[4:5]
	s_wait_xcnt 0x0
	s_and_saveexec_b32 s6, s0
	s_cbranch_execz .LBB2_113
; %bb.112:
	v_mov_b64_e32 v[4:5], 0x100000002
	v_mov_b32_e32 v2, s1
	global_store_b128 v[10:11], v[2:5], off offset:8
.LBB2_113:
	s_wait_xcnt 0x0
	s_or_b32 exec_lo, exec_lo, s6
	v_lshlrev_b64_e32 v[4:5], 12, v[12:13]
	s_mov_b32 s8, 0
	v_dual_lshlrev_b32 v2, 6, v45 :: v_dual_mov_b32 v12, 33
	s_mov_b32 s10, s8
	s_mov_b32 s11, s8
	;; [unrolled: 1-line block ×3, first 2 shown]
	s_delay_alu instid0(VALU_DEP_2)
	v_add_nc_u64_e32 v[8:9], v[8:9], v[4:5]
	v_mov_b64_e32 v[18:19], s[10:11]
	v_mov_b64_e32 v[16:17], s[8:9]
	v_dual_mov_b32 v13, v3 :: v_dual_mov_b32 v14, v3
	v_mov_b32_e32 v15, v3
	v_readfirstlane_b32 s6, v8
	v_readfirstlane_b32 s7, v9
	s_clause 0x3
	global_store_b128 v2, v[12:15], s[6:7]
	global_store_b128 v2, v[16:19], s[6:7] offset:16
	global_store_b128 v2, v[16:19], s[6:7] offset:32
	;; [unrolled: 1-line block ×3, first 2 shown]
	s_wait_xcnt 0x0
	s_and_saveexec_b32 s1, s0
	s_cbranch_execz .LBB2_121
; %bb.114:
	v_dual_mov_b32 v1, 0 :: v_dual_mov_b32 v15, s5
	s_mov_b32 s6, exec_lo
	s_clause 0x1
	global_load_b64 v[16:17], v1, s[2:3] offset:32 scope:SCOPE_SYS
	global_load_b64 v[4:5], v1, s[2:3] offset:40
	s_wait_loadcnt 0x0
	v_dual_mov_b32 v14, s4 :: v_dual_bitop2_b32 v5, s5, v5 bitop3:0x40
	v_and_b32_e32 v4, s4, v4
	s_delay_alu instid0(VALU_DEP_1) | instskip(NEXT) | instid1(VALU_DEP_1)
	v_mul_u64_e32 v[4:5], 24, v[4:5]
	v_add_nc_u64_e32 v[12:13], v[6:7], v[4:5]
	global_store_b64 v[12:13], v[16:17], off
	global_wb scope:SCOPE_SYS
	s_wait_storecnt 0x0
	s_wait_xcnt 0x0
	global_atomic_cmpswap_b64 v[6:7], v1, v[14:17], s[2:3] offset:32 th:TH_ATOMIC_RETURN scope:SCOPE_SYS
	s_wait_loadcnt 0x0
	v_cmpx_ne_u64_e64 v[6:7], v[16:17]
	s_cbranch_execz .LBB2_117
; %bb.115:
	s_mov_b32 s7, 0
.LBB2_116:                              ; =>This Inner Loop Header: Depth=1
	v_dual_mov_b32 v4, s4 :: v_dual_mov_b32 v5, s5
	s_sleep 1
	global_store_b64 v[12:13], v[6:7], off
	global_wb scope:SCOPE_SYS
	s_wait_storecnt 0x0
	s_wait_xcnt 0x0
	global_atomic_cmpswap_b64 v[4:5], v1, v[4:7], s[2:3] offset:32 th:TH_ATOMIC_RETURN scope:SCOPE_SYS
	s_wait_loadcnt 0x0
	v_cmp_eq_u64_e32 vcc_lo, v[4:5], v[6:7]
	v_mov_b64_e32 v[6:7], v[4:5]
	s_or_b32 s7, vcc_lo, s7
	s_delay_alu instid0(SALU_CYCLE_1)
	s_and_not1_b32 exec_lo, exec_lo, s7
	s_cbranch_execnz .LBB2_116
.LBB2_117:
	s_or_b32 exec_lo, exec_lo, s6
	v_mov_b32_e32 v7, 0
	s_mov_b32 s7, exec_lo
	s_mov_b32 s6, exec_lo
	v_mbcnt_lo_u32_b32 v1, s7, 0
	global_load_b64 v[4:5], v7, s[2:3] offset:16
	s_wait_xcnt 0x0
	v_cmpx_eq_u32_e32 0, v1
	s_cbranch_execz .LBB2_119
; %bb.118:
	s_bcnt1_i32_b32 s7, s7
	s_delay_alu instid0(SALU_CYCLE_1)
	v_mov_b32_e32 v6, s7
	global_wb scope:SCOPE_SYS
	s_wait_loadcnt 0x0
	s_wait_storecnt 0x0
	global_atomic_add_u64 v[4:5], v[6:7], off offset:8 scope:SCOPE_SYS
.LBB2_119:
	s_wait_xcnt 0x0
	s_or_b32 exec_lo, exec_lo, s6
	s_wait_loadcnt 0x0
	global_load_b64 v[6:7], v[4:5], off offset:16
	s_wait_loadcnt 0x0
	v_cmp_eq_u64_e32 vcc_lo, 0, v[6:7]
	s_cbranch_vccnz .LBB2_121
; %bb.120:
	global_load_b32 v4, v[4:5], off offset:24
	s_wait_xcnt 0x0
	v_mov_b32_e32 v5, 0
	s_wait_loadcnt 0x0
	v_readfirstlane_b32 s6, v4
	global_wb scope:SCOPE_SYS
	s_wait_storecnt 0x0
	global_store_b64 v[6:7], v[4:5], off scope:SCOPE_SYS
	s_and_b32 m0, s6, 0xffffff
	s_sendmsg sendmsg(MSG_INTERRUPT)
.LBB2_121:
	s_wait_xcnt 0x0
	s_or_b32 exec_lo, exec_lo, s1
	v_add_nc_u64_e32 v[4:5], v[8:9], v[2:3]
	s_branch .LBB2_123
.LBB2_122:
	s_branch .LBB2_127
.LBB2_123:                              ; =>This Inner Loop Header: Depth=1
	v_mov_b32_e32 v1, 1
	s_and_saveexec_b32 s1, s0
	s_cbranch_execz .LBB2_125
; %bb.124:                              ;   in Loop: Header=BB2_123 Depth=1
	global_load_b32 v1, v[10:11], off offset:20 scope:SCOPE_SYS
	s_wait_loadcnt 0x0
	global_inv scope:SCOPE_SYS
	v_and_b32_e32 v1, 1, v1
.LBB2_125:                              ;   in Loop: Header=BB2_123 Depth=1
	s_wait_xcnt 0x0
	s_or_b32 exec_lo, exec_lo, s1
	s_delay_alu instid0(VALU_DEP_1)
	v_readfirstlane_b32 s1, v1
	s_cmp_eq_u32 s1, 0
	s_cbranch_scc1 .LBB2_122
; %bb.126:                              ;   in Loop: Header=BB2_123 Depth=1
	s_sleep 1
	s_cbranch_execnz .LBB2_123
.LBB2_127:
	global_load_b64 v[4:5], v[4:5], off
	s_wait_xcnt 0x0
	s_and_saveexec_b32 s6, s0
	s_cbranch_execz .LBB2_131
; %bb.128:
	v_mov_b32_e32 v1, 0
	s_clause 0x2
	global_load_b64 v[6:7], v1, s[2:3] offset:40
	global_load_b64 v[14:15], v1, s[2:3] offset:24 scope:SCOPE_SYS
	global_load_b64 v[8:9], v1, s[2:3]
	s_wait_loadcnt 0x2
	v_readfirstlane_b32 s8, v6
	v_readfirstlane_b32 s9, v7
	s_add_nc_u64 s[0:1], s[8:9], 1
	s_delay_alu instid0(SALU_CYCLE_1) | instskip(NEXT) | instid1(SALU_CYCLE_1)
	s_add_nc_u64 s[4:5], s[0:1], s[4:5]
	s_cmp_eq_u64 s[4:5], 0
	s_cselect_b32 s1, s1, s5
	s_cselect_b32 s0, s0, s4
	v_mov_b32_e32 v13, s1
	s_and_b64 s[4:5], s[0:1], s[8:9]
	v_mov_b32_e32 v12, s0
	s_mul_u64 s[4:5], s[4:5], 24
	s_wait_loadcnt 0x0
	v_add_nc_u64_e32 v[10:11], s[4:5], v[8:9]
	global_store_b64 v[10:11], v[14:15], off
	global_wb scope:SCOPE_SYS
	s_wait_storecnt 0x0
	s_wait_xcnt 0x0
	global_atomic_cmpswap_b64 v[8:9], v1, v[12:15], s[2:3] offset:24 th:TH_ATOMIC_RETURN scope:SCOPE_SYS
	s_wait_loadcnt 0x0
	v_cmp_ne_u64_e32 vcc_lo, v[8:9], v[14:15]
	s_and_b32 exec_lo, exec_lo, vcc_lo
	s_cbranch_execz .LBB2_131
; %bb.129:
	s_mov_b32 s4, 0
.LBB2_130:                              ; =>This Inner Loop Header: Depth=1
	v_dual_mov_b32 v6, s0 :: v_dual_mov_b32 v7, s1
	s_sleep 1
	global_store_b64 v[10:11], v[8:9], off
	global_wb scope:SCOPE_SYS
	s_wait_storecnt 0x0
	s_wait_xcnt 0x0
	global_atomic_cmpswap_b64 v[6:7], v1, v[6:9], s[2:3] offset:24 th:TH_ATOMIC_RETURN scope:SCOPE_SYS
	s_wait_loadcnt 0x0
	v_cmp_eq_u64_e32 vcc_lo, v[6:7], v[8:9]
	v_mov_b64_e32 v[8:9], v[6:7]
	s_or_b32 s4, vcc_lo, s4
	s_delay_alu instid0(SALU_CYCLE_1)
	s_and_not1_b32 exec_lo, exec_lo, s4
	s_cbranch_execnz .LBB2_130
.LBB2_131:
	s_or_b32 exec_lo, exec_lo, s6
	s_get_pc_i64 s[4:5]
	s_add_nc_u64 s[4:5], s[4:5], .str.28@rel64+4
	s_delay_alu instid0(SALU_CYCLE_1)
	s_cmp_lg_u64 s[4:5], 0
	s_cbranch_scc0 .LBB2_211
; %bb.132:
	v_mov_b64_e32 v[8:9], 0x100000002
	s_wait_loadcnt 0x0
	v_dual_mov_b32 v11, v5 :: v_dual_bitop2_b32 v10, -3, v4 bitop3:0x40
	v_mov_b32_e32 v7, 0
	s_mov_b64 s[6:7], 35
	s_branch .LBB2_134
.LBB2_133:                              ;   in Loop: Header=BB2_134 Depth=1
	s_or_b32 exec_lo, exec_lo, s12
	s_sub_nc_u64 s[6:7], s[6:7], s[8:9]
	s_add_nc_u64 s[4:5], s[4:5], s[8:9]
	s_cmp_lg_u64 s[6:7], 0
	s_cbranch_scc0 .LBB2_210
.LBB2_134:                              ; =>This Loop Header: Depth=1
                                        ;     Child Loop BB2_137 Depth 2
                                        ;     Child Loop BB2_144 Depth 2
	;; [unrolled: 1-line block ×11, first 2 shown]
	s_wait_loadcnt 0x0
	v_min_u64 v[12:13], s[6:7], 56
	v_cmp_gt_u64_e64 s0, s[6:7], 7
	s_and_b32 vcc_lo, exec_lo, s0
	v_readfirstlane_b32 s8, v12
	v_readfirstlane_b32 s9, v13
	s_cbranch_vccnz .LBB2_139
; %bb.135:                              ;   in Loop: Header=BB2_134 Depth=1
	v_mov_b64_e32 v[12:13], 0
	s_cmp_eq_u64 s[6:7], 0
	s_cbranch_scc1 .LBB2_138
; %bb.136:                              ;   in Loop: Header=BB2_134 Depth=1
	s_mov_b64 s[0:1], 0
	s_mov_b64 s[10:11], 0
.LBB2_137:                              ;   Parent Loop BB2_134 Depth=1
                                        ; =>  This Inner Loop Header: Depth=2
	s_wait_xcnt 0x0
	s_add_nc_u64 s[12:13], s[4:5], s[10:11]
	s_add_nc_u64 s[10:11], s[10:11], 1
	global_load_u8 v1, v7, s[12:13]
	s_cmp_lg_u32 s8, s10
	s_wait_loadcnt 0x0
	v_and_b32_e32 v6, 0xffff, v1
	s_delay_alu instid0(VALU_DEP_1) | instskip(SKIP_1) | instid1(VALU_DEP_1)
	v_lshlrev_b64_e32 v[14:15], s0, v[6:7]
	s_add_nc_u64 s[0:1], s[0:1], 8
	v_or_b32_e32 v12, v14, v12
	s_delay_alu instid0(VALU_DEP_2)
	v_or_b32_e32 v13, v15, v13
	s_cbranch_scc1 .LBB2_137
.LBB2_138:                              ;   in Loop: Header=BB2_134 Depth=1
	s_mov_b64 s[10:11], s[4:5]
	s_mov_b32 s14, 0
	s_cbranch_execz .LBB2_140
	s_branch .LBB2_141
.LBB2_139:                              ;   in Loop: Header=BB2_134 Depth=1
	s_add_nc_u64 s[10:11], s[4:5], 8
	s_mov_b32 s14, 0
.LBB2_140:                              ;   in Loop: Header=BB2_134 Depth=1
	global_load_b64 v[12:13], v7, s[4:5]
	s_add_co_i32 s14, s8, -8
.LBB2_141:                              ;   in Loop: Header=BB2_134 Depth=1
	s_delay_alu instid0(SALU_CYCLE_1)
	s_cmp_gt_u32 s14, 7
	s_cbranch_scc1 .LBB2_146
; %bb.142:                              ;   in Loop: Header=BB2_134 Depth=1
	v_mov_b64_e32 v[14:15], 0
	s_cmp_eq_u32 s14, 0
	s_cbranch_scc1 .LBB2_145
; %bb.143:                              ;   in Loop: Header=BB2_134 Depth=1
	s_mov_b64 s[0:1], 0
	s_wait_xcnt 0x0
	s_mov_b64 s[12:13], 0
.LBB2_144:                              ;   Parent Loop BB2_134 Depth=1
                                        ; =>  This Inner Loop Header: Depth=2
	s_wait_xcnt 0x0
	s_add_nc_u64 s[20:21], s[10:11], s[12:13]
	s_add_nc_u64 s[12:13], s[12:13], 1
	global_load_u8 v1, v7, s[20:21]
	s_cmp_lg_u32 s14, s12
	s_wait_loadcnt 0x0
	v_and_b32_e32 v6, 0xffff, v1
	s_delay_alu instid0(VALU_DEP_1) | instskip(SKIP_1) | instid1(VALU_DEP_1)
	v_lshlrev_b64_e32 v[16:17], s0, v[6:7]
	s_add_nc_u64 s[0:1], s[0:1], 8
	v_or_b32_e32 v14, v16, v14
	s_delay_alu instid0(VALU_DEP_2)
	v_or_b32_e32 v15, v17, v15
	s_cbranch_scc1 .LBB2_144
.LBB2_145:                              ;   in Loop: Header=BB2_134 Depth=1
	s_wait_xcnt 0x0
	s_mov_b64 s[0:1], s[10:11]
	s_mov_b32 s15, 0
	s_cbranch_execz .LBB2_147
	s_branch .LBB2_148
.LBB2_146:                              ;   in Loop: Header=BB2_134 Depth=1
	s_add_nc_u64 s[0:1], s[10:11], 8
	s_wait_xcnt 0x0
                                        ; implicit-def: $vgpr14_vgpr15
	s_mov_b32 s15, 0
.LBB2_147:                              ;   in Loop: Header=BB2_134 Depth=1
	global_load_b64 v[14:15], v7, s[10:11]
	s_add_co_i32 s15, s14, -8
.LBB2_148:                              ;   in Loop: Header=BB2_134 Depth=1
	s_delay_alu instid0(SALU_CYCLE_1)
	s_cmp_gt_u32 s15, 7
	s_cbranch_scc1 .LBB2_153
; %bb.149:                              ;   in Loop: Header=BB2_134 Depth=1
	v_mov_b64_e32 v[16:17], 0
	s_cmp_eq_u32 s15, 0
	s_cbranch_scc1 .LBB2_152
; %bb.150:                              ;   in Loop: Header=BB2_134 Depth=1
	s_wait_xcnt 0x0
	s_mov_b64 s[10:11], 0
	s_mov_b64 s[12:13], 0
.LBB2_151:                              ;   Parent Loop BB2_134 Depth=1
                                        ; =>  This Inner Loop Header: Depth=2
	s_wait_xcnt 0x0
	s_add_nc_u64 s[20:21], s[0:1], s[12:13]
	s_add_nc_u64 s[12:13], s[12:13], 1
	global_load_u8 v1, v7, s[20:21]
	s_cmp_lg_u32 s15, s12
	s_wait_loadcnt 0x0
	v_and_b32_e32 v6, 0xffff, v1
	s_delay_alu instid0(VALU_DEP_1) | instskip(SKIP_1) | instid1(VALU_DEP_1)
	v_lshlrev_b64_e32 v[18:19], s10, v[6:7]
	s_add_nc_u64 s[10:11], s[10:11], 8
	v_or_b32_e32 v16, v18, v16
	s_delay_alu instid0(VALU_DEP_2)
	v_or_b32_e32 v17, v19, v17
	s_cbranch_scc1 .LBB2_151
.LBB2_152:                              ;   in Loop: Header=BB2_134 Depth=1
	s_wait_xcnt 0x0
	s_mov_b64 s[10:11], s[0:1]
	s_mov_b32 s14, 0
	s_cbranch_execz .LBB2_154
	s_branch .LBB2_155
.LBB2_153:                              ;   in Loop: Header=BB2_134 Depth=1
	s_wait_xcnt 0x0
	s_add_nc_u64 s[10:11], s[0:1], 8
	s_mov_b32 s14, 0
.LBB2_154:                              ;   in Loop: Header=BB2_134 Depth=1
	global_load_b64 v[16:17], v7, s[0:1]
	s_add_co_i32 s14, s15, -8
.LBB2_155:                              ;   in Loop: Header=BB2_134 Depth=1
	s_delay_alu instid0(SALU_CYCLE_1)
	s_cmp_gt_u32 s14, 7
	s_cbranch_scc1 .LBB2_160
; %bb.156:                              ;   in Loop: Header=BB2_134 Depth=1
	v_mov_b64_e32 v[18:19], 0
	s_cmp_eq_u32 s14, 0
	s_cbranch_scc1 .LBB2_159
; %bb.157:                              ;   in Loop: Header=BB2_134 Depth=1
	s_wait_xcnt 0x0
	s_mov_b64 s[0:1], 0
	s_mov_b64 s[12:13], 0
.LBB2_158:                              ;   Parent Loop BB2_134 Depth=1
                                        ; =>  This Inner Loop Header: Depth=2
	s_wait_xcnt 0x0
	s_add_nc_u64 s[20:21], s[10:11], s[12:13]
	s_add_nc_u64 s[12:13], s[12:13], 1
	global_load_u8 v1, v7, s[20:21]
	s_cmp_lg_u32 s14, s12
	s_wait_loadcnt 0x0
	v_and_b32_e32 v6, 0xffff, v1
	s_delay_alu instid0(VALU_DEP_1) | instskip(SKIP_1) | instid1(VALU_DEP_1)
	v_lshlrev_b64_e32 v[20:21], s0, v[6:7]
	s_add_nc_u64 s[0:1], s[0:1], 8
	v_or_b32_e32 v18, v20, v18
	s_delay_alu instid0(VALU_DEP_2)
	v_or_b32_e32 v19, v21, v19
	s_cbranch_scc1 .LBB2_158
.LBB2_159:                              ;   in Loop: Header=BB2_134 Depth=1
	s_wait_xcnt 0x0
	s_mov_b64 s[0:1], s[10:11]
	s_mov_b32 s15, 0
	s_cbranch_execz .LBB2_161
	s_branch .LBB2_162
.LBB2_160:                              ;   in Loop: Header=BB2_134 Depth=1
	s_wait_xcnt 0x0
	s_add_nc_u64 s[0:1], s[10:11], 8
                                        ; implicit-def: $vgpr18_vgpr19
	s_mov_b32 s15, 0
.LBB2_161:                              ;   in Loop: Header=BB2_134 Depth=1
	global_load_b64 v[18:19], v7, s[10:11]
	s_add_co_i32 s15, s14, -8
.LBB2_162:                              ;   in Loop: Header=BB2_134 Depth=1
	s_delay_alu instid0(SALU_CYCLE_1)
	s_cmp_gt_u32 s15, 7
	s_cbranch_scc1 .LBB2_167
; %bb.163:                              ;   in Loop: Header=BB2_134 Depth=1
	v_mov_b64_e32 v[20:21], 0
	s_cmp_eq_u32 s15, 0
	s_cbranch_scc1 .LBB2_166
; %bb.164:                              ;   in Loop: Header=BB2_134 Depth=1
	s_wait_xcnt 0x0
	s_mov_b64 s[10:11], 0
	s_mov_b64 s[12:13], 0
.LBB2_165:                              ;   Parent Loop BB2_134 Depth=1
                                        ; =>  This Inner Loop Header: Depth=2
	s_wait_xcnt 0x0
	s_add_nc_u64 s[20:21], s[0:1], s[12:13]
	s_add_nc_u64 s[12:13], s[12:13], 1
	global_load_u8 v1, v7, s[20:21]
	s_cmp_lg_u32 s15, s12
	s_wait_loadcnt 0x0
	v_and_b32_e32 v6, 0xffff, v1
	s_delay_alu instid0(VALU_DEP_1) | instskip(SKIP_1) | instid1(VALU_DEP_1)
	v_lshlrev_b64_e32 v[22:23], s10, v[6:7]
	s_add_nc_u64 s[10:11], s[10:11], 8
	v_or_b32_e32 v20, v22, v20
	s_delay_alu instid0(VALU_DEP_2)
	v_or_b32_e32 v21, v23, v21
	s_cbranch_scc1 .LBB2_165
.LBB2_166:                              ;   in Loop: Header=BB2_134 Depth=1
	s_wait_xcnt 0x0
	s_mov_b64 s[10:11], s[0:1]
	s_mov_b32 s14, 0
	s_cbranch_execz .LBB2_168
	s_branch .LBB2_169
.LBB2_167:                              ;   in Loop: Header=BB2_134 Depth=1
	s_wait_xcnt 0x0
	s_add_nc_u64 s[10:11], s[0:1], 8
	s_mov_b32 s14, 0
.LBB2_168:                              ;   in Loop: Header=BB2_134 Depth=1
	global_load_b64 v[20:21], v7, s[0:1]
	s_add_co_i32 s14, s15, -8
.LBB2_169:                              ;   in Loop: Header=BB2_134 Depth=1
	s_delay_alu instid0(SALU_CYCLE_1)
	s_cmp_gt_u32 s14, 7
	s_cbranch_scc1 .LBB2_174
; %bb.170:                              ;   in Loop: Header=BB2_134 Depth=1
	v_mov_b64_e32 v[22:23], 0
	s_cmp_eq_u32 s14, 0
	s_cbranch_scc1 .LBB2_173
; %bb.171:                              ;   in Loop: Header=BB2_134 Depth=1
	s_wait_xcnt 0x0
	s_mov_b64 s[0:1], 0
	s_mov_b64 s[12:13], 0
.LBB2_172:                              ;   Parent Loop BB2_134 Depth=1
                                        ; =>  This Inner Loop Header: Depth=2
	s_wait_xcnt 0x0
	s_add_nc_u64 s[20:21], s[10:11], s[12:13]
	s_add_nc_u64 s[12:13], s[12:13], 1
	global_load_u8 v1, v7, s[20:21]
	s_cmp_lg_u32 s14, s12
	s_wait_loadcnt 0x0
	v_and_b32_e32 v6, 0xffff, v1
	s_delay_alu instid0(VALU_DEP_1) | instskip(SKIP_1) | instid1(VALU_DEP_1)
	v_lshlrev_b64_e32 v[24:25], s0, v[6:7]
	s_add_nc_u64 s[0:1], s[0:1], 8
	v_or_b32_e32 v22, v24, v22
	s_delay_alu instid0(VALU_DEP_2)
	v_or_b32_e32 v23, v25, v23
	s_cbranch_scc1 .LBB2_172
.LBB2_173:                              ;   in Loop: Header=BB2_134 Depth=1
	s_wait_xcnt 0x0
	s_mov_b64 s[0:1], s[10:11]
	s_mov_b32 s15, 0
	s_cbranch_execz .LBB2_175
	s_branch .LBB2_176
.LBB2_174:                              ;   in Loop: Header=BB2_134 Depth=1
	s_wait_xcnt 0x0
	s_add_nc_u64 s[0:1], s[10:11], 8
                                        ; implicit-def: $vgpr22_vgpr23
	s_mov_b32 s15, 0
.LBB2_175:                              ;   in Loop: Header=BB2_134 Depth=1
	global_load_b64 v[22:23], v7, s[10:11]
	s_add_co_i32 s15, s14, -8
.LBB2_176:                              ;   in Loop: Header=BB2_134 Depth=1
	s_delay_alu instid0(SALU_CYCLE_1)
	s_cmp_gt_u32 s15, 7
	s_cbranch_scc1 .LBB2_181
; %bb.177:                              ;   in Loop: Header=BB2_134 Depth=1
	v_mov_b64_e32 v[24:25], 0
	s_cmp_eq_u32 s15, 0
	s_cbranch_scc1 .LBB2_180
; %bb.178:                              ;   in Loop: Header=BB2_134 Depth=1
	s_wait_xcnt 0x0
	s_mov_b64 s[10:11], 0
	s_mov_b64 s[12:13], s[0:1]
.LBB2_179:                              ;   Parent Loop BB2_134 Depth=1
                                        ; =>  This Inner Loop Header: Depth=2
	global_load_u8 v1, v7, s[12:13]
	s_add_co_i32 s15, s15, -1
	s_wait_xcnt 0x0
	s_add_nc_u64 s[12:13], s[12:13], 1
	s_cmp_lg_u32 s15, 0
	s_wait_loadcnt 0x0
	v_and_b32_e32 v6, 0xffff, v1
	s_delay_alu instid0(VALU_DEP_1) | instskip(SKIP_1) | instid1(VALU_DEP_1)
	v_lshlrev_b64_e32 v[26:27], s10, v[6:7]
	s_add_nc_u64 s[10:11], s[10:11], 8
	v_or_b32_e32 v24, v26, v24
	s_delay_alu instid0(VALU_DEP_2)
	v_or_b32_e32 v25, v27, v25
	s_cbranch_scc1 .LBB2_179
.LBB2_180:                              ;   in Loop: Header=BB2_134 Depth=1
	s_wait_xcnt 0x0
	s_cbranch_execz .LBB2_182
	s_branch .LBB2_183
.LBB2_181:                              ;   in Loop: Header=BB2_134 Depth=1
	s_wait_xcnt 0x0
.LBB2_182:                              ;   in Loop: Header=BB2_134 Depth=1
	global_load_b64 v[24:25], v7, s[0:1]
.LBB2_183:                              ;   in Loop: Header=BB2_134 Depth=1
	s_wait_xcnt 0x0
	v_readfirstlane_b32 s0, v45
	v_mov_b64_e32 v[30:31], 0
	s_delay_alu instid0(VALU_DEP_2)
	v_cmp_eq_u32_e64 s0, s0, v45
	s_and_saveexec_b32 s1, s0
	s_cbranch_execz .LBB2_189
; %bb.184:                              ;   in Loop: Header=BB2_134 Depth=1
	global_load_b64 v[28:29], v7, s[2:3] offset:24 scope:SCOPE_SYS
	s_wait_loadcnt 0x0
	global_inv scope:SCOPE_SYS
	s_clause 0x1
	global_load_b64 v[26:27], v7, s[2:3] offset:40
	global_load_b64 v[30:31], v7, s[2:3]
	s_mov_b32 s10, exec_lo
	s_wait_loadcnt 0x1
	v_and_b32_e32 v26, v26, v28
	v_and_b32_e32 v27, v27, v29
	s_delay_alu instid0(VALU_DEP_1) | instskip(SKIP_1) | instid1(VALU_DEP_1)
	v_mul_u64_e32 v[26:27], 24, v[26:27]
	s_wait_loadcnt 0x0
	v_add_nc_u64_e32 v[26:27], v[30:31], v[26:27]
	global_load_b64 v[26:27], v[26:27], off scope:SCOPE_SYS
	s_wait_xcnt 0x0
	s_wait_loadcnt 0x0
	global_atomic_cmpswap_b64 v[30:31], v7, v[26:29], s[2:3] offset:24 th:TH_ATOMIC_RETURN scope:SCOPE_SYS
	s_wait_loadcnt 0x0
	global_inv scope:SCOPE_SYS
	s_wait_xcnt 0x0
	v_cmpx_ne_u64_e64 v[30:31], v[28:29]
	s_cbranch_execz .LBB2_188
; %bb.185:                              ;   in Loop: Header=BB2_134 Depth=1
	s_mov_b32 s11, 0
.LBB2_186:                              ;   Parent Loop BB2_134 Depth=1
                                        ; =>  This Inner Loop Header: Depth=2
	s_sleep 1
	s_clause 0x1
	global_load_b64 v[26:27], v7, s[2:3] offset:40
	global_load_b64 v[32:33], v7, s[2:3]
	v_mov_b64_e32 v[28:29], v[30:31]
	s_wait_loadcnt 0x1
	s_delay_alu instid0(VALU_DEP_1) | instskip(SKIP_1) | instid1(VALU_DEP_1)
	v_and_b32_e32 v1, v26, v28
	s_wait_loadcnt 0x0
	v_mad_nc_u64_u32 v[30:31], v1, 24, v[32:33]
	s_delay_alu instid0(VALU_DEP_3) | instskip(NEXT) | instid1(VALU_DEP_1)
	v_and_b32_e32 v1, v27, v29
	v_mad_u32 v31, v1, 24, v31
	global_load_b64 v[26:27], v[30:31], off scope:SCOPE_SYS
	s_wait_xcnt 0x0
	s_wait_loadcnt 0x0
	global_atomic_cmpswap_b64 v[30:31], v7, v[26:29], s[2:3] offset:24 th:TH_ATOMIC_RETURN scope:SCOPE_SYS
	s_wait_loadcnt 0x0
	global_inv scope:SCOPE_SYS
	v_cmp_eq_u64_e32 vcc_lo, v[30:31], v[28:29]
	s_or_b32 s11, vcc_lo, s11
	s_wait_xcnt 0x0
	s_and_not1_b32 exec_lo, exec_lo, s11
	s_cbranch_execnz .LBB2_186
; %bb.187:                              ;   in Loop: Header=BB2_134 Depth=1
	s_or_b32 exec_lo, exec_lo, s11
.LBB2_188:                              ;   in Loop: Header=BB2_134 Depth=1
	s_delay_alu instid0(SALU_CYCLE_1)
	s_or_b32 exec_lo, exec_lo, s10
.LBB2_189:                              ;   in Loop: Header=BB2_134 Depth=1
	s_delay_alu instid0(SALU_CYCLE_1)
	s_or_b32 exec_lo, exec_lo, s1
	s_clause 0x1
	global_load_b64 v[32:33], v7, s[2:3] offset:40
	global_load_b128 v[26:29], v7, s[2:3]
	v_readfirstlane_b32 s10, v30
	v_readfirstlane_b32 s11, v31
	s_mov_b32 s1, exec_lo
	s_wait_loadcnt 0x1
	v_and_b32_e32 v32, s10, v32
	v_and_b32_e32 v33, s11, v33
	s_delay_alu instid0(VALU_DEP_1) | instskip(SKIP_1) | instid1(VALU_DEP_1)
	v_mul_u64_e32 v[30:31], 24, v[32:33]
	s_wait_loadcnt 0x0
	v_add_nc_u64_e32 v[30:31], v[26:27], v[30:31]
	s_wait_xcnt 0x0
	s_and_saveexec_b32 s12, s0
	s_cbranch_execz .LBB2_191
; %bb.190:                              ;   in Loop: Header=BB2_134 Depth=1
	v_mov_b32_e32 v6, s1
	global_store_b128 v[30:31], v[6:9], off offset:8
.LBB2_191:                              ;   in Loop: Header=BB2_134 Depth=1
	s_wait_xcnt 0x0
	s_or_b32 exec_lo, exec_lo, s12
	v_cmp_gt_u64_e64 s1, s[6:7], 56
	v_lshlrev_b64_e32 v[32:33], 12, v[32:33]
	v_and_b32_e32 v1, 0xffffff1f, v10
	s_and_b32 s1, s1, exec_lo
	s_delay_alu instid0(VALU_DEP_2) | instskip(SKIP_4) | instid1(VALU_DEP_2)
	v_add_nc_u64_e32 v[28:29], v[28:29], v[32:33]
	s_cselect_b32 s1, 0, 2
	s_lshl_b32 s12, s8, 2
	v_or_b32_e32 v1, s1, v1
	s_add_co_i32 s1, s12, 28
	v_readfirstlane_b32 s12, v28
	s_delay_alu instid0(VALU_DEP_3) | instskip(NEXT) | instid1(VALU_DEP_3)
	v_readfirstlane_b32 s13, v29
	v_and_or_b32 v10, 0x1e0, s1, v1
	s_clause 0x3
	global_store_b128 v2, v[10:13], s[12:13]
	global_store_b128 v2, v[14:17], s[12:13] offset:16
	global_store_b128 v2, v[18:21], s[12:13] offset:32
	;; [unrolled: 1-line block ×3, first 2 shown]
	s_wait_xcnt 0x0
	s_and_saveexec_b32 s1, s0
	s_cbranch_execz .LBB2_199
; %bb.192:                              ;   in Loop: Header=BB2_134 Depth=1
	s_clause 0x1
	global_load_b64 v[18:19], v7, s[2:3] offset:32 scope:SCOPE_SYS
	global_load_b64 v[10:11], v7, s[2:3] offset:40
	s_mov_b32 s12, exec_lo
	v_dual_mov_b32 v16, s10 :: v_dual_mov_b32 v17, s11
	s_wait_loadcnt 0x0
	v_and_b32_e32 v11, s11, v11
	v_and_b32_e32 v10, s10, v10
	s_delay_alu instid0(VALU_DEP_1) | instskip(NEXT) | instid1(VALU_DEP_1)
	v_mul_u64_e32 v[10:11], 24, v[10:11]
	v_add_nc_u64_e32 v[14:15], v[26:27], v[10:11]
	global_store_b64 v[14:15], v[18:19], off
	global_wb scope:SCOPE_SYS
	s_wait_storecnt 0x0
	s_wait_xcnt 0x0
	global_atomic_cmpswap_b64 v[12:13], v7, v[16:19], s[2:3] offset:32 th:TH_ATOMIC_RETURN scope:SCOPE_SYS
	s_wait_loadcnt 0x0
	v_cmpx_ne_u64_e64 v[12:13], v[18:19]
	s_cbranch_execz .LBB2_195
; %bb.193:                              ;   in Loop: Header=BB2_134 Depth=1
	s_mov_b32 s13, 0
.LBB2_194:                              ;   Parent Loop BB2_134 Depth=1
                                        ; =>  This Inner Loop Header: Depth=2
	v_dual_mov_b32 v10, s10 :: v_dual_mov_b32 v11, s11
	s_sleep 1
	global_store_b64 v[14:15], v[12:13], off
	global_wb scope:SCOPE_SYS
	s_wait_storecnt 0x0
	s_wait_xcnt 0x0
	global_atomic_cmpswap_b64 v[10:11], v7, v[10:13], s[2:3] offset:32 th:TH_ATOMIC_RETURN scope:SCOPE_SYS
	s_wait_loadcnt 0x0
	v_cmp_eq_u64_e32 vcc_lo, v[10:11], v[12:13]
	v_mov_b64_e32 v[12:13], v[10:11]
	s_or_b32 s13, vcc_lo, s13
	s_delay_alu instid0(SALU_CYCLE_1)
	s_and_not1_b32 exec_lo, exec_lo, s13
	s_cbranch_execnz .LBB2_194
.LBB2_195:                              ;   in Loop: Header=BB2_134 Depth=1
	s_or_b32 exec_lo, exec_lo, s12
	global_load_b64 v[10:11], v7, s[2:3] offset:16
	s_mov_b32 s13, exec_lo
	s_mov_b32 s12, exec_lo
	v_mbcnt_lo_u32_b32 v1, s13, 0
	s_wait_xcnt 0x0
	s_delay_alu instid0(VALU_DEP_1)
	v_cmpx_eq_u32_e32 0, v1
	s_cbranch_execz .LBB2_197
; %bb.196:                              ;   in Loop: Header=BB2_134 Depth=1
	s_bcnt1_i32_b32 s13, s13
	s_delay_alu instid0(SALU_CYCLE_1)
	v_mov_b32_e32 v6, s13
	global_wb scope:SCOPE_SYS
	s_wait_loadcnt 0x0
	s_wait_storecnt 0x0
	global_atomic_add_u64 v[10:11], v[6:7], off offset:8 scope:SCOPE_SYS
.LBB2_197:                              ;   in Loop: Header=BB2_134 Depth=1
	s_wait_xcnt 0x0
	s_or_b32 exec_lo, exec_lo, s12
	s_wait_loadcnt 0x0
	global_load_b64 v[12:13], v[10:11], off offset:16
	s_wait_loadcnt 0x0
	v_cmp_eq_u64_e32 vcc_lo, 0, v[12:13]
	s_cbranch_vccnz .LBB2_199
; %bb.198:                              ;   in Loop: Header=BB2_134 Depth=1
	global_load_b32 v6, v[10:11], off offset:24
	s_wait_loadcnt 0x0
	v_readfirstlane_b32 s12, v6
	global_wb scope:SCOPE_SYS
	s_wait_storecnt 0x0
	s_wait_xcnt 0x0
	global_store_b64 v[12:13], v[6:7], off scope:SCOPE_SYS
	s_and_b32 m0, s12, 0xffffff
	s_sendmsg sendmsg(MSG_INTERRUPT)
.LBB2_199:                              ;   in Loop: Header=BB2_134 Depth=1
	s_wait_xcnt 0x0
	s_or_b32 exec_lo, exec_lo, s1
	v_mov_b32_e32 v3, v7
	s_delay_alu instid0(VALU_DEP_1)
	v_add_nc_u64_e32 v[10:11], v[28:29], v[2:3]
	s_branch .LBB2_201
.LBB2_200:                              ;   in Loop: Header=BB2_134 Depth=1
	s_branch .LBB2_205
.LBB2_201:                              ;   Parent Loop BB2_134 Depth=1
                                        ; =>  This Inner Loop Header: Depth=2
	v_mov_b32_e32 v1, 1
	s_and_saveexec_b32 s1, s0
	s_cbranch_execz .LBB2_203
; %bb.202:                              ;   in Loop: Header=BB2_201 Depth=2
	global_load_b32 v1, v[30:31], off offset:20 scope:SCOPE_SYS
	s_wait_loadcnt 0x0
	global_inv scope:SCOPE_SYS
	v_and_b32_e32 v1, 1, v1
.LBB2_203:                              ;   in Loop: Header=BB2_201 Depth=2
	s_wait_xcnt 0x0
	s_or_b32 exec_lo, exec_lo, s1
	s_delay_alu instid0(VALU_DEP_1)
	v_readfirstlane_b32 s1, v1
	s_cmp_eq_u32 s1, 0
	s_cbranch_scc1 .LBB2_200
; %bb.204:                              ;   in Loop: Header=BB2_201 Depth=2
	s_sleep 1
	s_cbranch_execnz .LBB2_201
.LBB2_205:                              ;   in Loop: Header=BB2_134 Depth=1
	global_load_b128 v[10:13], v[10:11], off
	s_wait_xcnt 0x0
	s_and_saveexec_b32 s12, s0
	s_cbranch_execz .LBB2_133
; %bb.206:                              ;   in Loop: Header=BB2_134 Depth=1
	s_wait_loadcnt 0x0
	s_clause 0x2
	global_load_b64 v[12:13], v7, s[2:3] offset:40
	global_load_b64 v[20:21], v7, s[2:3] offset:24 scope:SCOPE_SYS
	global_load_b64 v[14:15], v7, s[2:3]
	s_wait_loadcnt 0x2
	v_readfirstlane_b32 s14, v12
	v_readfirstlane_b32 s15, v13
	s_add_nc_u64 s[0:1], s[14:15], 1
	s_delay_alu instid0(SALU_CYCLE_1) | instskip(NEXT) | instid1(SALU_CYCLE_1)
	s_add_nc_u64 s[10:11], s[0:1], s[10:11]
	s_cmp_eq_u64 s[10:11], 0
	s_cselect_b32 s1, s1, s11
	s_cselect_b32 s0, s0, s10
	s_delay_alu instid0(SALU_CYCLE_1) | instskip(SKIP_1) | instid1(SALU_CYCLE_1)
	v_dual_mov_b32 v19, s1 :: v_dual_mov_b32 v18, s0
	s_and_b64 s[10:11], s[0:1], s[14:15]
	s_mul_u64 s[10:11], s[10:11], 24
	s_wait_loadcnt 0x0
	v_add_nc_u64_e32 v[16:17], s[10:11], v[14:15]
	global_store_b64 v[16:17], v[20:21], off
	global_wb scope:SCOPE_SYS
	s_wait_storecnt 0x0
	s_wait_xcnt 0x0
	global_atomic_cmpswap_b64 v[14:15], v7, v[18:21], s[2:3] offset:24 th:TH_ATOMIC_RETURN scope:SCOPE_SYS
	s_wait_loadcnt 0x0
	v_cmp_ne_u64_e32 vcc_lo, v[14:15], v[20:21]
	s_and_b32 exec_lo, exec_lo, vcc_lo
	s_cbranch_execz .LBB2_133
; %bb.207:                              ;   in Loop: Header=BB2_134 Depth=1
	s_mov_b32 s10, 0
.LBB2_208:                              ;   Parent Loop BB2_134 Depth=1
                                        ; =>  This Inner Loop Header: Depth=2
	v_dual_mov_b32 v12, s0 :: v_dual_mov_b32 v13, s1
	s_sleep 1
	global_store_b64 v[16:17], v[14:15], off
	global_wb scope:SCOPE_SYS
	s_wait_storecnt 0x0
	s_wait_xcnt 0x0
	global_atomic_cmpswap_b64 v[12:13], v7, v[12:15], s[2:3] offset:24 th:TH_ATOMIC_RETURN scope:SCOPE_SYS
	s_wait_loadcnt 0x0
	v_cmp_eq_u64_e32 vcc_lo, v[12:13], v[14:15]
	v_mov_b64_e32 v[14:15], v[12:13]
	s_or_b32 s10, vcc_lo, s10
	s_delay_alu instid0(SALU_CYCLE_1)
	s_and_not1_b32 exec_lo, exec_lo, s10
	s_cbranch_execnz .LBB2_208
	s_branch .LBB2_133
.LBB2_209:
	s_or_b32 exec_lo, exec_lo, s12
	s_delay_alu instid0(SALU_CYCLE_1)
	s_mov_b32 s17, exec_lo
	s_or_not1_b32 s0, s11, exec_lo
	s_or_b32 exec_lo, exec_lo, s10
	s_mov_b32 s48, s36
	s_and_saveexec_b32 s18, s0
	s_cbranch_execz .LBB2_48
	s_branch .LBB2_47
.LBB2_210:
	s_mov_b32 s0, 0
	s_branch .LBB2_212
.LBB2_211:
	s_mov_b32 s0, -1
.LBB2_212:
	v_mov_b32_e32 v55, v0
	s_and_b32 vcc_lo, exec_lo, s0
	s_cbranch_vccz .LBB2_240
; %bb.213:
	v_readfirstlane_b32 s0, v45
	v_mov_b64_e32 v[0:1], 0
	s_delay_alu instid0(VALU_DEP_2)
	v_cmp_eq_u32_e64 s0, s0, v45
	s_and_saveexec_b32 s1, s0
	s_cbranch_execz .LBB2_219
; %bb.214:
	v_mov_b32_e32 v3, 0
	s_mov_b32 s4, exec_lo
	global_load_b64 v[8:9], v3, s[2:3] offset:24 scope:SCOPE_SYS
	s_wait_loadcnt 0x0
	global_inv scope:SCOPE_SYS
	s_clause 0x1
	global_load_b64 v[0:1], v3, s[2:3] offset:40
	global_load_b64 v[6:7], v3, s[2:3]
	s_wait_loadcnt 0x1
	v_and_b32_e32 v0, v0, v8
	v_and_b32_e32 v1, v1, v9
	s_delay_alu instid0(VALU_DEP_1) | instskip(SKIP_1) | instid1(VALU_DEP_1)
	v_mul_u64_e32 v[0:1], 24, v[0:1]
	s_wait_loadcnt 0x0
	v_add_nc_u64_e32 v[0:1], v[6:7], v[0:1]
	global_load_b64 v[6:7], v[0:1], off scope:SCOPE_SYS
	s_wait_xcnt 0x0
	s_wait_loadcnt 0x0
	global_atomic_cmpswap_b64 v[0:1], v3, v[6:9], s[2:3] offset:24 th:TH_ATOMIC_RETURN scope:SCOPE_SYS
	s_wait_loadcnt 0x0
	global_inv scope:SCOPE_SYS
	s_wait_xcnt 0x0
	v_cmpx_ne_u64_e64 v[0:1], v[8:9]
	s_cbranch_execz .LBB2_218
; %bb.215:
	s_mov_b32 s5, 0
.LBB2_216:                              ; =>This Inner Loop Header: Depth=1
	s_sleep 1
	s_clause 0x1
	global_load_b64 v[6:7], v3, s[2:3] offset:40
	global_load_b64 v[10:11], v3, s[2:3]
	v_mov_b64_e32 v[8:9], v[0:1]
	s_wait_loadcnt 0x1
	s_delay_alu instid0(VALU_DEP_1) | instskip(NEXT) | instid1(VALU_DEP_2)
	v_and_b32_e32 v0, v6, v8
	v_and_b32_e32 v6, v7, v9
	s_wait_loadcnt 0x0
	s_delay_alu instid0(VALU_DEP_2) | instskip(NEXT) | instid1(VALU_DEP_1)
	v_mad_nc_u64_u32 v[0:1], v0, 24, v[10:11]
	v_mad_u32 v1, v6, 24, v1
	global_load_b64 v[6:7], v[0:1], off scope:SCOPE_SYS
	s_wait_xcnt 0x0
	s_wait_loadcnt 0x0
	global_atomic_cmpswap_b64 v[0:1], v3, v[6:9], s[2:3] offset:24 th:TH_ATOMIC_RETURN scope:SCOPE_SYS
	s_wait_loadcnt 0x0
	global_inv scope:SCOPE_SYS
	v_cmp_eq_u64_e32 vcc_lo, v[0:1], v[8:9]
	s_or_b32 s5, vcc_lo, s5
	s_wait_xcnt 0x0
	s_and_not1_b32 exec_lo, exec_lo, s5
	s_cbranch_execnz .LBB2_216
; %bb.217:
	s_or_b32 exec_lo, exec_lo, s5
.LBB2_218:
	s_delay_alu instid0(SALU_CYCLE_1)
	s_or_b32 exec_lo, exec_lo, s4
.LBB2_219:
	s_delay_alu instid0(SALU_CYCLE_1)
	s_or_b32 exec_lo, exec_lo, s1
	v_readfirstlane_b32 s4, v0
	v_mov_b32_e32 v6, 0
	v_readfirstlane_b32 s5, v1
	s_mov_b32 s1, exec_lo
	s_wait_loadcnt 0x0
	s_clause 0x1
	global_load_b64 v[12:13], v6, s[2:3] offset:40
	global_load_b128 v[8:11], v6, s[2:3]
	s_wait_loadcnt 0x1
	v_and_b32_e32 v0, s4, v12
	v_and_b32_e32 v1, s5, v13
	s_delay_alu instid0(VALU_DEP_1) | instskip(SKIP_1) | instid1(VALU_DEP_1)
	v_mul_u64_e32 v[12:13], 24, v[0:1]
	s_wait_loadcnt 0x0
	v_add_nc_u64_e32 v[12:13], v[8:9], v[12:13]
	s_wait_xcnt 0x0
	s_and_saveexec_b32 s6, s0
	s_cbranch_execz .LBB2_221
; %bb.220:
	v_mov_b64_e32 v[16:17], 0x100000002
	v_dual_mov_b32 v14, s1 :: v_dual_mov_b32 v15, v6
	global_store_b128 v[12:13], v[14:17], off offset:8
.LBB2_221:
	s_wait_xcnt 0x0
	s_or_b32 exec_lo, exec_lo, s6
	v_lshlrev_b64_e32 v[0:1], 12, v[0:1]
	s_mov_b32 s8, 0
	v_and_or_b32 v4, 0xffffff1d, v4, 34
	s_mov_b32 s10, s8
	s_mov_b32 s11, s8
	s_mov_b32 s9, s8
	v_mov_b64_e32 v[16:17], s[10:11]
	v_add_nc_u64_e32 v[0:1], v[10:11], v[0:1]
	v_mov_b64_e32 v[14:15], s[8:9]
	v_mov_b32_e32 v7, v6
	s_delay_alu instid0(VALU_DEP_3) | instskip(NEXT) | instid1(VALU_DEP_4)
	v_readfirstlane_b32 s6, v0
	v_readfirstlane_b32 s7, v1
	s_clause 0x3
	global_store_b128 v2, v[4:7], s[6:7]
	global_store_b128 v2, v[14:17], s[6:7] offset:16
	global_store_b128 v2, v[14:17], s[6:7] offset:32
	;; [unrolled: 1-line block ×3, first 2 shown]
	s_wait_xcnt 0x0
	s_and_saveexec_b32 s1, s0
	s_cbranch_execz .LBB2_229
; %bb.222:
	v_mov_b32_e32 v6, 0
	s_mov_b32 s6, exec_lo
	s_clause 0x1
	global_load_b64 v[10:11], v6, s[2:3] offset:32 scope:SCOPE_SYS
	global_load_b64 v[0:1], v6, s[2:3] offset:40
	s_wait_loadcnt 0x0
	v_and_b32_e32 v0, s4, v0
	v_and_b32_e32 v1, s5, v1
	s_delay_alu instid0(VALU_DEP_1) | instskip(NEXT) | instid1(VALU_DEP_1)
	v_mul_u64_e32 v[0:1], 24, v[0:1]
	v_add_nc_u64_e32 v[4:5], v[8:9], v[0:1]
	v_dual_mov_b32 v8, s4 :: v_dual_mov_b32 v9, s5
	global_store_b64 v[4:5], v[10:11], off
	global_wb scope:SCOPE_SYS
	s_wait_storecnt 0x0
	s_wait_xcnt 0x0
	global_atomic_cmpswap_b64 v[2:3], v6, v[8:11], s[2:3] offset:32 th:TH_ATOMIC_RETURN scope:SCOPE_SYS
	s_wait_loadcnt 0x0
	v_cmpx_ne_u64_e64 v[2:3], v[10:11]
	s_cbranch_execz .LBB2_225
; %bb.223:
	s_mov_b32 s7, 0
.LBB2_224:                              ; =>This Inner Loop Header: Depth=1
	v_dual_mov_b32 v0, s4 :: v_dual_mov_b32 v1, s5
	s_sleep 1
	global_store_b64 v[4:5], v[2:3], off
	global_wb scope:SCOPE_SYS
	s_wait_storecnt 0x0
	s_wait_xcnt 0x0
	global_atomic_cmpswap_b64 v[0:1], v6, v[0:3], s[2:3] offset:32 th:TH_ATOMIC_RETURN scope:SCOPE_SYS
	s_wait_loadcnt 0x0
	v_cmp_eq_u64_e32 vcc_lo, v[0:1], v[2:3]
	v_mov_b64_e32 v[2:3], v[0:1]
	s_or_b32 s7, vcc_lo, s7
	s_delay_alu instid0(SALU_CYCLE_1)
	s_and_not1_b32 exec_lo, exec_lo, s7
	s_cbranch_execnz .LBB2_224
.LBB2_225:
	s_or_b32 exec_lo, exec_lo, s6
	v_mov_b32_e32 v3, 0
	s_mov_b32 s7, exec_lo
	s_mov_b32 s6, exec_lo
	v_mbcnt_lo_u32_b32 v2, s7, 0
	global_load_b64 v[0:1], v3, s[2:3] offset:16
	s_wait_xcnt 0x0
	v_cmpx_eq_u32_e32 0, v2
	s_cbranch_execz .LBB2_227
; %bb.226:
	s_bcnt1_i32_b32 s7, s7
	s_delay_alu instid0(SALU_CYCLE_1)
	v_mov_b32_e32 v2, s7
	global_wb scope:SCOPE_SYS
	s_wait_loadcnt 0x0
	s_wait_storecnt 0x0
	global_atomic_add_u64 v[0:1], v[2:3], off offset:8 scope:SCOPE_SYS
.LBB2_227:
	s_wait_xcnt 0x0
	s_or_b32 exec_lo, exec_lo, s6
	s_wait_loadcnt 0x0
	global_load_b64 v[2:3], v[0:1], off offset:16
	s_wait_loadcnt 0x0
	v_cmp_eq_u64_e32 vcc_lo, 0, v[2:3]
	s_cbranch_vccnz .LBB2_229
; %bb.228:
	global_load_b32 v0, v[0:1], off offset:24
	s_wait_xcnt 0x0
	v_mov_b32_e32 v1, 0
	s_wait_loadcnt 0x0
	v_readfirstlane_b32 s6, v0
	global_wb scope:SCOPE_SYS
	s_wait_storecnt 0x0
	global_store_b64 v[2:3], v[0:1], off scope:SCOPE_SYS
	s_and_b32 m0, s6, 0xffffff
	s_sendmsg sendmsg(MSG_INTERRUPT)
.LBB2_229:
	s_wait_xcnt 0x0
	s_or_b32 exec_lo, exec_lo, s1
	s_branch .LBB2_231
.LBB2_230:
	s_branch .LBB2_235
.LBB2_231:                              ; =>This Inner Loop Header: Depth=1
	v_mov_b32_e32 v0, 1
	s_and_saveexec_b32 s1, s0
	s_cbranch_execz .LBB2_233
; %bb.232:                              ;   in Loop: Header=BB2_231 Depth=1
	global_load_b32 v0, v[12:13], off offset:20 scope:SCOPE_SYS
	s_wait_loadcnt 0x0
	global_inv scope:SCOPE_SYS
	v_and_b32_e32 v0, 1, v0
.LBB2_233:                              ;   in Loop: Header=BB2_231 Depth=1
	s_wait_xcnt 0x0
	s_or_b32 exec_lo, exec_lo, s1
	s_delay_alu instid0(VALU_DEP_1)
	v_readfirstlane_b32 s1, v0
	s_cmp_eq_u32 s1, 0
	s_cbranch_scc1 .LBB2_230
; %bb.234:                              ;   in Loop: Header=BB2_231 Depth=1
	s_sleep 1
	s_cbranch_execnz .LBB2_231
.LBB2_235:
	s_and_saveexec_b32 s6, s0
	s_cbranch_execz .LBB2_239
; %bb.236:
	v_mov_b32_e32 v6, 0
	s_clause 0x2
	global_load_b64 v[0:1], v6, s[2:3] offset:40
	global_load_b64 v[10:11], v6, s[2:3] offset:24 scope:SCOPE_SYS
	global_load_b64 v[2:3], v6, s[2:3]
	s_wait_loadcnt 0x2
	v_readfirstlane_b32 s8, v0
	v_readfirstlane_b32 s9, v1
	s_add_nc_u64 s[0:1], s[8:9], 1
	s_delay_alu instid0(SALU_CYCLE_1) | instskip(NEXT) | instid1(SALU_CYCLE_1)
	s_add_nc_u64 s[4:5], s[0:1], s[4:5]
	s_cmp_eq_u64 s[4:5], 0
	s_cselect_b32 s1, s1, s5
	s_cselect_b32 s0, s0, s4
	v_mov_b32_e32 v9, s1
	s_and_b64 s[4:5], s[0:1], s[8:9]
	v_mov_b32_e32 v8, s0
	s_mul_u64 s[4:5], s[4:5], 24
	s_wait_loadcnt 0x0
	v_add_nc_u64_e32 v[4:5], s[4:5], v[2:3]
	global_store_b64 v[4:5], v[10:11], off
	global_wb scope:SCOPE_SYS
	s_wait_storecnt 0x0
	s_wait_xcnt 0x0
	global_atomic_cmpswap_b64 v[2:3], v6, v[8:11], s[2:3] offset:24 th:TH_ATOMIC_RETURN scope:SCOPE_SYS
	s_wait_loadcnt 0x0
	v_cmp_ne_u64_e32 vcc_lo, v[2:3], v[10:11]
	s_and_b32 exec_lo, exec_lo, vcc_lo
	s_cbranch_execz .LBB2_239
; %bb.237:
	s_mov_b32 s4, 0
.LBB2_238:                              ; =>This Inner Loop Header: Depth=1
	v_dual_mov_b32 v0, s0 :: v_dual_mov_b32 v1, s1
	s_sleep 1
	global_store_b64 v[4:5], v[2:3], off
	global_wb scope:SCOPE_SYS
	s_wait_storecnt 0x0
	s_wait_xcnt 0x0
	global_atomic_cmpswap_b64 v[0:1], v6, v[0:3], s[2:3] offset:24 th:TH_ATOMIC_RETURN scope:SCOPE_SYS
	s_wait_loadcnt 0x0
	v_cmp_eq_u64_e32 vcc_lo, v[0:1], v[2:3]
	v_mov_b64_e32 v[2:3], v[0:1]
	s_or_b32 s4, vcc_lo, s4
	s_delay_alu instid0(SALU_CYCLE_1)
	s_and_not1_b32 exec_lo, exec_lo, s4
	s_cbranch_execnz .LBB2_238
.LBB2_239:
	s_or_b32 exec_lo, exec_lo, s6
.LBB2_240:
	s_get_pc_i64 s[0:1]
	s_add_nc_u64 s[0:1], s[0:1], .str.29@rel64+4
	s_get_pc_i64 s[2:3]
	s_add_nc_u64 s[2:3], s[2:3], .str.19@rel64+4
	s_get_pc_i64 s[4:5]
	s_add_nc_u64 s[4:5], s[4:5], __PRETTY_FUNCTION__._ZN7VecsMemIjLi8192EE5fetchEi@rel64+4
	v_dual_mov_b32 v0, s0 :: v_dual_mov_b32 v1, s1
	v_dual_mov_b32 v2, s2 :: v_dual_mov_b32 v3, s3
	s_wait_loadcnt 0x0
	v_dual_mov_b32 v4, 12 :: v_dual_mov_b32 v5, s4
	v_mov_b32_e32 v6, s5
	s_get_pc_i64 s[6:7]
	s_add_nc_u64 s[6:7], s[6:7], __assert_fail@rel64+4
	s_mov_b64 s[8:9], s[34:35]
	s_swap_pc_i64 s[30:31], s[6:7]
	v_mov_b32_e32 v0, v55
	s_or_b32 s0, s48, exec_lo
.LBB2_241:
	s_or_b32 exec_lo, exec_lo, s19
	s_delay_alu instid0(SALU_CYCLE_1) | instskip(SKIP_1) | instid1(SALU_CYCLE_1)
	s_and_not1_b32 s1, s48, exec_lo
	s_and_b32 s0, s0, exec_lo
	s_or_b32 s19, s1, s0
	s_or_not1_b32 s0, s18, exec_lo
.LBB2_242:
	s_or_b32 exec_lo, exec_lo, s17
                                        ; implicit-def: $vgpr64
                                        ; implicit-def: $vgpr55
	s_and_saveexec_b32 s17, s0
	s_cbranch_execz .LBB2_264
; %bb.243:
	s_mov_b32 s20, 0
	s_mov_b32 s21, s19
	flat_store_b64 v[46:47], v[68:69] offset:8
                                        ; implicit-def: $vgpr64
                                        ; implicit-def: $vgpr55
	s_mov_b32 s0, exec_lo
	s_wait_xcnt 0x0
	v_cmpx_ne_u64_e32 0, v[68:69]
	s_xor_b32 s18, exec_lo, s0
	s_cbranch_execz .LBB2_261
; %bb.244:
	v_dual_mov_b32 v2, 0 :: v_dual_lshlrev_b32 v1, 1, v41
	s_mov_b32 s0, exec_lo
	v_cmpx_lt_i32_e32 0, v71
	s_cbranch_execz .LBB2_248
; %bb.245:
	scratch_load_b64 v[2:3], off, s33 offset:72
	v_mov_b64_e32 v[4:5], v[68:69]
	v_lshlrev_b32_e64 v6, v1, 1
	v_mov_b32_e32 v7, v71
	s_mov_b32 s1, 0
.LBB2_246:                              ; =>This Inner Loop Header: Depth=1
	s_wait_loadcnt 0x0
	flat_load_b32 v8, v[2:3]
	v_add_nc_u32_e32 v7, -1, v7
	s_wait_xcnt 0x0
	v_add_nc_u64_e32 v[2:3], 4, v[2:3]
	s_wait_loadcnt_dscnt 0x0
	v_or_b32_e32 v8, v8, v6
	v_cmp_eq_u32_e32 vcc_lo, 0, v7
	flat_store_b32 v[4:5], v8
	s_wait_xcnt 0x0
	v_add_nc_u64_e32 v[4:5], 4, v[4:5]
	s_or_b32 s1, vcc_lo, s1
	s_delay_alu instid0(SALU_CYCLE_1)
	s_and_not1_b32 exec_lo, exec_lo, s1
	s_cbranch_execnz .LBB2_246
; %bb.247:
	s_or_b32 exec_lo, exec_lo, s1
	v_mov_b32_e32 v2, v71
.LBB2_248:
	s_or_b32 exec_lo, exec_lo, s0
	s_mov_b32 s1, 0
	s_mov_b32 s0, exec_lo
	v_cmpx_lt_i32_e32 0, v67
	s_cbranch_execz .LBB2_252
; %bb.249:
	scratch_load_b64 v[4:5], off, s33 offset:88
	v_mov_b32_e32 v3, 0
	v_lshlrev_b32_e64 v1, v1, 2
	s_delay_alu instid0(VALU_DEP_2)
	v_lshl_add_u64 v[6:7], v[2:3], 2, v[68:69]
	v_add_nc_u32_e32 v2, v67, v2
.LBB2_250:                              ; =>This Inner Loop Header: Depth=1
	s_wait_loadcnt 0x0
	flat_load_b32 v3, v[4:5]
	v_add_nc_u32_e32 v67, -1, v67
	s_wait_xcnt 0x0
	v_add_nc_u64_e32 v[4:5], 4, v[4:5]
	s_wait_loadcnt_dscnt 0x0
	v_or_b32_e32 v3, v3, v1
	v_cmp_eq_u32_e32 vcc_lo, 0, v67
	flat_store_b32 v[6:7], v3
	s_wait_xcnt 0x0
	v_add_nc_u64_e32 v[6:7], 4, v[6:7]
	s_or_b32 s1, vcc_lo, s1
	s_delay_alu instid0(SALU_CYCLE_1)
	s_and_not1_b32 exec_lo, exec_lo, s1
	s_cbranch_execnz .LBB2_250
; %bb.251:
	s_or_b32 exec_lo, exec_lo, s1
.LBB2_252:
	s_delay_alu instid0(SALU_CYCLE_1)
	s_or_b32 exec_lo, exec_lo, s0
	s_mov_b32 s1, 0
	s_mov_b32 s0, exec_lo
	v_cmpx_lt_i32_e32 0, v65
	s_cbranch_execz .LBB2_256
; %bb.253:
	scratch_load_b64 v[4:5], off, s33 offset:104
	v_mov_b32_e32 v3, 0
	s_delay_alu instid0(VALU_DEP_1)
	v_lshl_add_u64 v[6:7], v[2:3], 2, v[68:69]
	v_add_nc_u32_e32 v2, v65, v2
.LBB2_254:                              ; =>This Inner Loop Header: Depth=1
	s_wait_loadcnt 0x0
	flat_load_b32 v1, v[4:5]
	v_add_nc_u32_e32 v65, -1, v65
	s_wait_xcnt 0x0
	v_add_nc_u64_e32 v[4:5], 4, v[4:5]
	s_delay_alu instid0(VALU_DEP_2)
	v_cmp_eq_u32_e32 vcc_lo, 0, v65
	s_or_b32 s1, vcc_lo, s1
	s_wait_loadcnt_dscnt 0x0
	flat_store_b32 v[6:7], v1
	s_wait_xcnt 0x0
	v_add_nc_u64_e32 v[6:7], 4, v[6:7]
	s_and_not1_b32 exec_lo, exec_lo, s1
	s_cbranch_execnz .LBB2_254
; %bb.255:
	s_or_b32 exec_lo, exec_lo, s1
.LBB2_256:
	s_delay_alu instid0(SALU_CYCLE_1)
	s_or_b32 exec_lo, exec_lo, s0
	flat_load_b32 v1, v[46:47] offset:4
	s_mov_b32 s0, s19
	s_mov_b32 s1, exec_lo
	s_wait_loadcnt_dscnt 0x0
	v_cmpx_ne_u32_e64 v2, v1
	s_xor_b32 s20, exec_lo, s1
	s_cbranch_execz .LBB2_258
; %bb.257:
	s_get_pc_i64 s[0:1]
	s_add_nc_u64 s[0:1], s[0:1], .str.23@rel64+4
	s_get_pc_i64 s[2:3]
	s_add_nc_u64 s[2:3], s[2:3], .str.16@rel64+4
	s_get_pc_i64 s[4:5]
	s_add_nc_u64 s[4:5], s[4:5], __PRETTY_FUNCTION__._ZN3sop14minatoIsop5RecEjjiPNS_3SopEP7VecsMemIjLi8192EE@rel64+4
	v_dual_mov_b32 v0, s0 :: v_dual_mov_b32 v1, s1
	v_dual_mov_b32 v2, s2 :: v_dual_mov_b32 v3, s3
	;; [unrolled: 1-line block ×3, first 2 shown]
	v_mov_b32_e32 v6, s5
	s_get_pc_i64 s[6:7]
	s_add_nc_u64 s[6:7], s[6:7], __assert_fail@rel64+4
	s_mov_b64 s[8:9], s[34:35]
	s_swap_pc_i64 s[30:31], s[6:7]
	s_or_b32 s0, s19, exec_lo
                                        ; implicit-def: $vgpr41
                                        ; implicit-def: $vgpr42
                                        ; implicit-def: $vgpr43
                                        ; implicit-def: $vgpr0
.LBB2_258:
	s_or_saveexec_b32 s1, s20
	s_mov_b32 s2, 0
                                        ; implicit-def: $vgpr64
                                        ; implicit-def: $vgpr55
	s_xor_b32 exec_lo, exec_lo, s1
	s_cbranch_execz .LBB2_260
; %bb.259:
	s_get_pc_i64 s[4:5]
	s_add_nc_u64 s[4:5], s[4:5], __const._ZN3sop14minatoIsop5RecEjjiPNS_3SopEP7VecsMemIjLi8192EE.uMasks@rel64+4
	s_mov_b32 s2, exec_lo
	global_load_b32 v1, v41, s[4:5] scale_offset
	s_wait_loadcnt 0x0
	v_bitop3_b32 v2, v42, v1, v42 bitop3:0x30
	v_and_b32_e32 v1, v1, v43
	s_delay_alu instid0(VALU_DEP_1) | instskip(NEXT) | instid1(VALU_DEP_1)
	v_or3_b32 v64, v1, v0, v2
	v_mov_b32_e32 v55, v64
.LBB2_260:
	s_wait_xcnt 0x0
	s_or_b32 exec_lo, exec_lo, s1
	s_delay_alu instid0(SALU_CYCLE_1)
	s_and_not1_b32 s1, s19, exec_lo
	s_and_b32 s0, s0, exec_lo
	s_and_b32 s20, s2, exec_lo
	s_or_b32 s21, s1, s0
.LBB2_261:
	s_and_not1_saveexec_b32 s18, s18
	s_cbranch_execz .LBB2_263
; %bb.262:
	s_get_pc_i64 s[0:1]
	s_add_nc_u64 s[0:1], s[0:1], .str.20@rel64+4
	s_get_pc_i64 s[2:3]
	s_add_nc_u64 s[2:3], s[2:3], .str.16@rel64+4
	s_get_pc_i64 s[4:5]
	s_add_nc_u64 s[4:5], s[4:5], __PRETTY_FUNCTION__._ZN3sop14minatoIsop5RecEjjiPNS_3SopEP7VecsMemIjLi8192EE@rel64+4
	v_dual_mov_b32 v0, s0 :: v_dual_mov_b32 v1, s1
	v_dual_mov_b32 v2, s2 :: v_dual_mov_b32 v3, s3
	;; [unrolled: 1-line block ×3, first 2 shown]
	v_mov_b32_e32 v6, s5
	s_get_pc_i64 s[6:7]
	s_add_nc_u64 s[6:7], s[6:7], __assert_fail@rel64+4
	s_mov_b64 s[8:9], s[34:35]
	s_swap_pc_i64 s[30:31], s[6:7]
	s_or_b32 s21, s21, exec_lo
.LBB2_263:
	s_or_b32 exec_lo, exec_lo, s18
	s_delay_alu instid0(SALU_CYCLE_1)
	s_and_not1_b32 s0, s19, exec_lo
	s_and_b32 s1, s21, exec_lo
	s_and_b32 s50, s20, exec_lo
	s_or_b32 s19, s0, s1
.LBB2_264:
	s_or_b32 exec_lo, exec_lo, s17
	s_delay_alu instid0(SALU_CYCLE_1)
	s_and_not1_b32 s1, s48, exec_lo
	s_and_b32 s2, s19, exec_lo
	s_and_b32 s0, s50, exec_lo
	s_or_b32 s48, s1, s2
.LBB2_265:
	s_or_b32 exec_lo, exec_lo, s49
	s_delay_alu instid0(SALU_CYCLE_1)
	s_and_not1_b32 s1, s36, exec_lo
	s_and_b32 s2, s48, exec_lo
	s_and_b32 s18, s0, exec_lo
	s_or_b32 s17, s1, s2
                                        ; implicit-def: $vgpr56_vgpr57
.LBB2_266:
	s_and_not1_saveexec_b32 s19, s39
	s_cbranch_execz .LBB2_405
; %bb.267:
	v_mov_b64_e32 v[0:1], 0x100000000
	s_mov_b32 s20, s18
	s_mov_b32 s0, exec_lo
	flat_store_b64 v[46:47], v[0:1]
	flat_load_b32 v0, v[56:57]
	s_wait_loadcnt_dscnt 0x0
	v_cmpx_gt_i32_e32 0x2000, v0
	s_xor_b32 s0, exec_lo, s0
	s_cbranch_execz .LBB2_269
; %bb.268:
	v_ashrrev_i32_e32 v1, 31, v0
	s_or_b32 s20, s18, exec_lo
	s_delay_alu instid0(VALU_DEP_1) | instskip(SKIP_1) | instid1(VALU_DEP_2)
	v_lshl_add_u64 v[2:3], v[0:1], 2, v[56:57]
	v_dual_mov_b32 v1, 0 :: v_dual_add_nc_u32 v0, 1, v0
	v_add_nc_u64_e32 v[4:5], 4, v[2:3]
	flat_store_b32 v[56:57], v0
	flat_store_b64 v[46:47], v[4:5] offset:8
	flat_store_b32 v[2:3], v1 offset:4
.LBB2_269:
	s_wait_xcnt 0x0
	s_or_saveexec_b32 s21, s0
	s_mov_b32 s0, s17
	s_xor_b32 exec_lo, exec_lo, s21
	s_cbranch_execz .LBB2_404
; %bb.270:
	s_load_b64 s[2:3], s[34:35], 0x50
	v_mbcnt_lo_u32_b32 v32, -1, 0
	v_mov_b64_e32 v[2:3], 0
	s_delay_alu instid0(VALU_DEP_2) | instskip(NEXT) | instid1(VALU_DEP_1)
	v_readfirstlane_b32 s0, v32
	v_cmp_eq_u32_e64 s0, s0, v32
	s_and_saveexec_b32 s1, s0
	s_cbranch_execz .LBB2_276
; %bb.271:
	v_mov_b32_e32 v0, 0
	s_mov_b32 s4, exec_lo
	s_wait_kmcnt 0x0
	global_load_b64 v[4:5], v0, s[2:3] offset:24 scope:SCOPE_SYS
	s_wait_loadcnt 0x0
	global_inv scope:SCOPE_SYS
	s_clause 0x1
	global_load_b64 v[2:3], v0, s[2:3] offset:40
	global_load_b64 v[6:7], v0, s[2:3]
	s_wait_loadcnt 0x1
	v_and_b32_e32 v2, v2, v4
	v_and_b32_e32 v3, v3, v5
	s_delay_alu instid0(VALU_DEP_1) | instskip(SKIP_1) | instid1(VALU_DEP_1)
	v_mul_u64_e32 v[2:3], 24, v[2:3]
	s_wait_loadcnt 0x0
	v_add_nc_u64_e32 v[2:3], v[6:7], v[2:3]
	global_load_b64 v[2:3], v[2:3], off scope:SCOPE_SYS
	s_wait_xcnt 0x0
	s_wait_loadcnt 0x0
	global_atomic_cmpswap_b64 v[2:3], v0, v[2:5], s[2:3] offset:24 th:TH_ATOMIC_RETURN scope:SCOPE_SYS
	s_wait_loadcnt 0x0
	global_inv scope:SCOPE_SYS
	s_wait_xcnt 0x0
	v_cmpx_ne_u64_e64 v[2:3], v[4:5]
	s_cbranch_execz .LBB2_275
; %bb.272:
	s_mov_b32 s5, 0
.LBB2_273:                              ; =>This Inner Loop Header: Depth=1
	s_sleep 1
	s_clause 0x1
	global_load_b64 v[6:7], v0, s[2:3] offset:40
	global_load_b64 v[8:9], v0, s[2:3]
	v_mov_b64_e32 v[4:5], v[2:3]
	s_wait_loadcnt 0x1
	s_delay_alu instid0(VALU_DEP_1) | instskip(SKIP_1) | instid1(VALU_DEP_1)
	v_and_b32_e32 v1, v6, v4
	s_wait_loadcnt 0x0
	v_mad_nc_u64_u32 v[2:3], v1, 24, v[8:9]
	s_delay_alu instid0(VALU_DEP_3) | instskip(NEXT) | instid1(VALU_DEP_1)
	v_and_b32_e32 v1, v7, v5
	v_mad_u32 v3, v1, 24, v3
	global_load_b64 v[2:3], v[2:3], off scope:SCOPE_SYS
	s_wait_xcnt 0x0
	s_wait_loadcnt 0x0
	global_atomic_cmpswap_b64 v[2:3], v0, v[2:5], s[2:3] offset:24 th:TH_ATOMIC_RETURN scope:SCOPE_SYS
	s_wait_loadcnt 0x0
	global_inv scope:SCOPE_SYS
	v_cmp_eq_u64_e32 vcc_lo, v[2:3], v[4:5]
	s_or_b32 s5, vcc_lo, s5
	s_wait_xcnt 0x0
	s_and_not1_b32 exec_lo, exec_lo, s5
	s_cbranch_execnz .LBB2_273
; %bb.274:
	s_or_b32 exec_lo, exec_lo, s5
.LBB2_275:
	s_delay_alu instid0(SALU_CYCLE_1)
	s_or_b32 exec_lo, exec_lo, s4
.LBB2_276:
	s_delay_alu instid0(SALU_CYCLE_1)
	s_or_b32 exec_lo, exec_lo, s1
	v_readfirstlane_b32 s4, v2
	v_mov_b32_e32 v1, 0
	v_readfirstlane_b32 s5, v3
	s_mov_b32 s1, exec_lo
	s_wait_kmcnt 0x0
	s_clause 0x1
	global_load_b64 v[8:9], v1, s[2:3] offset:40
	global_load_b128 v[4:7], v1, s[2:3]
	s_wait_loadcnt 0x1
	v_and_b32_e32 v10, s4, v8
	v_and_b32_e32 v11, s5, v9
	s_delay_alu instid0(VALU_DEP_1) | instskip(SKIP_1) | instid1(VALU_DEP_1)
	v_mul_u64_e32 v[2:3], 24, v[10:11]
	s_wait_loadcnt 0x0
	v_add_nc_u64_e32 v[8:9], v[4:5], v[2:3]
	s_wait_xcnt 0x0
	s_and_saveexec_b32 s6, s0
	s_cbranch_execz .LBB2_278
; %bb.277:
	v_mov_b64_e32 v[2:3], 0x100000002
	v_mov_b32_e32 v0, s1
	global_store_b128 v[8:9], v[0:3], off offset:8
.LBB2_278:
	s_wait_xcnt 0x0
	s_or_b32 exec_lo, exec_lo, s6
	v_lshlrev_b64_e32 v[2:3], 12, v[10:11]
	s_mov_b32 s8, 0
	v_dual_lshlrev_b32 v0, 6, v32 :: v_dual_mov_b32 v10, 33
	s_mov_b32 s10, s8
	s_mov_b32 s11, s8
	;; [unrolled: 1-line block ×3, first 2 shown]
	s_delay_alu instid0(VALU_DEP_2)
	v_add_nc_u64_e32 v[6:7], v[6:7], v[2:3]
	v_mov_b64_e32 v[16:17], s[10:11]
	v_mov_b64_e32 v[14:15], s[8:9]
	v_dual_mov_b32 v11, v1 :: v_dual_mov_b32 v12, v1
	v_mov_b32_e32 v13, v1
	v_readfirstlane_b32 s6, v6
	v_readfirstlane_b32 s7, v7
	s_clause 0x3
	global_store_b128 v0, v[10:13], s[6:7]
	global_store_b128 v0, v[14:17], s[6:7] offset:16
	global_store_b128 v0, v[14:17], s[6:7] offset:32
	;; [unrolled: 1-line block ×3, first 2 shown]
	s_wait_xcnt 0x0
	s_and_saveexec_b32 s1, s0
	s_cbranch_execz .LBB2_286
; %bb.279:
	v_dual_mov_b32 v12, 0 :: v_dual_mov_b32 v15, s5
	s_mov_b32 s6, exec_lo
	s_clause 0x1
	global_load_b64 v[16:17], v12, s[2:3] offset:32 scope:SCOPE_SYS
	global_load_b64 v[2:3], v12, s[2:3] offset:40
	s_wait_loadcnt 0x0
	v_dual_mov_b32 v14, s4 :: v_dual_bitop2_b32 v3, s5, v3 bitop3:0x40
	v_and_b32_e32 v2, s4, v2
	s_delay_alu instid0(VALU_DEP_1) | instskip(NEXT) | instid1(VALU_DEP_1)
	v_mul_u64_e32 v[2:3], 24, v[2:3]
	v_add_nc_u64_e32 v[10:11], v[4:5], v[2:3]
	global_store_b64 v[10:11], v[16:17], off
	global_wb scope:SCOPE_SYS
	s_wait_storecnt 0x0
	s_wait_xcnt 0x0
	global_atomic_cmpswap_b64 v[4:5], v12, v[14:17], s[2:3] offset:32 th:TH_ATOMIC_RETURN scope:SCOPE_SYS
	s_wait_loadcnt 0x0
	v_cmpx_ne_u64_e64 v[4:5], v[16:17]
	s_cbranch_execz .LBB2_282
; %bb.280:
	s_mov_b32 s7, 0
.LBB2_281:                              ; =>This Inner Loop Header: Depth=1
	v_dual_mov_b32 v2, s4 :: v_dual_mov_b32 v3, s5
	s_sleep 1
	global_store_b64 v[10:11], v[4:5], off
	global_wb scope:SCOPE_SYS
	s_wait_storecnt 0x0
	s_wait_xcnt 0x0
	global_atomic_cmpswap_b64 v[2:3], v12, v[2:5], s[2:3] offset:32 th:TH_ATOMIC_RETURN scope:SCOPE_SYS
	s_wait_loadcnt 0x0
	v_cmp_eq_u64_e32 vcc_lo, v[2:3], v[4:5]
	v_mov_b64_e32 v[4:5], v[2:3]
	s_or_b32 s7, vcc_lo, s7
	s_delay_alu instid0(SALU_CYCLE_1)
	s_and_not1_b32 exec_lo, exec_lo, s7
	s_cbranch_execnz .LBB2_281
.LBB2_282:
	s_or_b32 exec_lo, exec_lo, s6
	v_mov_b32_e32 v5, 0
	s_mov_b32 s7, exec_lo
	s_mov_b32 s6, exec_lo
	v_mbcnt_lo_u32_b32 v4, s7, 0
	global_load_b64 v[2:3], v5, s[2:3] offset:16
	s_wait_xcnt 0x0
	v_cmpx_eq_u32_e32 0, v4
	s_cbranch_execz .LBB2_284
; %bb.283:
	s_bcnt1_i32_b32 s7, s7
	s_delay_alu instid0(SALU_CYCLE_1)
	v_mov_b32_e32 v4, s7
	global_wb scope:SCOPE_SYS
	s_wait_loadcnt 0x0
	s_wait_storecnt 0x0
	global_atomic_add_u64 v[2:3], v[4:5], off offset:8 scope:SCOPE_SYS
.LBB2_284:
	s_wait_xcnt 0x0
	s_or_b32 exec_lo, exec_lo, s6
	s_wait_loadcnt 0x0
	global_load_b64 v[4:5], v[2:3], off offset:16
	s_wait_loadcnt 0x0
	v_cmp_eq_u64_e32 vcc_lo, 0, v[4:5]
	s_cbranch_vccnz .LBB2_286
; %bb.285:
	global_load_b32 v2, v[2:3], off offset:24
	s_wait_xcnt 0x0
	v_mov_b32_e32 v3, 0
	s_wait_loadcnt 0x0
	v_readfirstlane_b32 s6, v2
	global_wb scope:SCOPE_SYS
	s_wait_storecnt 0x0
	global_store_b64 v[4:5], v[2:3], off scope:SCOPE_SYS
	s_and_b32 m0, s6, 0xffffff
	s_sendmsg sendmsg(MSG_INTERRUPT)
.LBB2_286:
	s_wait_xcnt 0x0
	s_or_b32 exec_lo, exec_lo, s1
	v_add_nc_u64_e32 v[2:3], v[6:7], v[0:1]
	s_branch .LBB2_288
.LBB2_287:
	s_branch .LBB2_292
.LBB2_288:                              ; =>This Inner Loop Header: Depth=1
	v_mov_b32_e32 v1, 1
	s_and_saveexec_b32 s1, s0
	s_cbranch_execz .LBB2_290
; %bb.289:                              ;   in Loop: Header=BB2_288 Depth=1
	global_load_b32 v1, v[8:9], off offset:20 scope:SCOPE_SYS
	s_wait_loadcnt 0x0
	global_inv scope:SCOPE_SYS
	v_and_b32_e32 v1, 1, v1
.LBB2_290:                              ;   in Loop: Header=BB2_288 Depth=1
	s_wait_xcnt 0x0
	s_or_b32 exec_lo, exec_lo, s1
	s_delay_alu instid0(VALU_DEP_1)
	v_readfirstlane_b32 s1, v1
	s_cmp_eq_u32 s1, 0
	s_cbranch_scc1 .LBB2_287
; %bb.291:                              ;   in Loop: Header=BB2_288 Depth=1
	s_sleep 1
	s_cbranch_execnz .LBB2_288
.LBB2_292:
	global_load_b64 v[2:3], v[2:3], off
	s_wait_xcnt 0x0
	s_and_saveexec_b32 s6, s0
	s_cbranch_execz .LBB2_296
; %bb.293:
	v_mov_b32_e32 v1, 0
	s_clause 0x2
	global_load_b64 v[4:5], v1, s[2:3] offset:40
	global_load_b64 v[12:13], v1, s[2:3] offset:24 scope:SCOPE_SYS
	global_load_b64 v[6:7], v1, s[2:3]
	s_wait_loadcnt 0x2
	v_readfirstlane_b32 s8, v4
	v_readfirstlane_b32 s9, v5
	s_add_nc_u64 s[0:1], s[8:9], 1
	s_delay_alu instid0(SALU_CYCLE_1) | instskip(NEXT) | instid1(SALU_CYCLE_1)
	s_add_nc_u64 s[4:5], s[0:1], s[4:5]
	s_cmp_eq_u64 s[4:5], 0
	s_cselect_b32 s1, s1, s5
	s_cselect_b32 s0, s0, s4
	v_mov_b32_e32 v11, s1
	s_and_b64 s[4:5], s[0:1], s[8:9]
	v_mov_b32_e32 v10, s0
	s_mul_u64 s[4:5], s[4:5], 24
	s_wait_loadcnt 0x0
	v_add_nc_u64_e32 v[8:9], s[4:5], v[6:7]
	global_store_b64 v[8:9], v[12:13], off
	global_wb scope:SCOPE_SYS
	s_wait_storecnt 0x0
	s_wait_xcnt 0x0
	global_atomic_cmpswap_b64 v[6:7], v1, v[10:13], s[2:3] offset:24 th:TH_ATOMIC_RETURN scope:SCOPE_SYS
	s_wait_loadcnt 0x0
	v_cmp_ne_u64_e32 vcc_lo, v[6:7], v[12:13]
	s_and_b32 exec_lo, exec_lo, vcc_lo
	s_cbranch_execz .LBB2_296
; %bb.294:
	s_mov_b32 s4, 0
.LBB2_295:                              ; =>This Inner Loop Header: Depth=1
	v_dual_mov_b32 v4, s0 :: v_dual_mov_b32 v5, s1
	s_sleep 1
	global_store_b64 v[8:9], v[6:7], off
	global_wb scope:SCOPE_SYS
	s_wait_storecnt 0x0
	s_wait_xcnt 0x0
	global_atomic_cmpswap_b64 v[4:5], v1, v[4:7], s[2:3] offset:24 th:TH_ATOMIC_RETURN scope:SCOPE_SYS
	s_wait_loadcnt 0x0
	v_cmp_eq_u64_e32 vcc_lo, v[4:5], v[6:7]
	v_mov_b64_e32 v[6:7], v[4:5]
	s_or_b32 s4, vcc_lo, s4
	s_delay_alu instid0(SALU_CYCLE_1)
	s_and_not1_b32 exec_lo, exec_lo, s4
	s_cbranch_execnz .LBB2_295
.LBB2_296:
	s_or_b32 exec_lo, exec_lo, s6
	s_get_pc_i64 s[4:5]
	s_add_nc_u64 s[4:5], s[4:5], .str.28@rel64+4
	s_delay_alu instid0(SALU_CYCLE_1)
	s_cmp_lg_u64 s[4:5], 0
	s_cbranch_scc0 .LBB2_375
; %bb.297:
	v_mov_b64_e32 v[6:7], 0x100000002
	s_wait_loadcnt 0x0
	v_dual_mov_b32 v9, v3 :: v_dual_bitop2_b32 v8, -3, v2 bitop3:0x40
	v_mov_b32_e32 v5, 0
	s_mov_b64 s[6:7], 35
	s_branch .LBB2_299
.LBB2_298:                              ;   in Loop: Header=BB2_299 Depth=1
	s_or_b32 exec_lo, exec_lo, s12
	s_sub_nc_u64 s[6:7], s[6:7], s[8:9]
	s_add_nc_u64 s[4:5], s[4:5], s[8:9]
	s_cmp_lg_u64 s[6:7], 0
	s_cbranch_scc0 .LBB2_374
.LBB2_299:                              ; =>This Loop Header: Depth=1
                                        ;     Child Loop BB2_302 Depth 2
                                        ;     Child Loop BB2_309 Depth 2
	;; [unrolled: 1-line block ×11, first 2 shown]
	s_wait_loadcnt 0x0
	v_min_u64 v[10:11], s[6:7], 56
	v_cmp_gt_u64_e64 s0, s[6:7], 7
	s_and_b32 vcc_lo, exec_lo, s0
	v_readfirstlane_b32 s8, v10
	v_readfirstlane_b32 s9, v11
	s_cbranch_vccnz .LBB2_304
; %bb.300:                              ;   in Loop: Header=BB2_299 Depth=1
	v_mov_b64_e32 v[10:11], 0
	s_cmp_eq_u64 s[6:7], 0
	s_cbranch_scc1 .LBB2_303
; %bb.301:                              ;   in Loop: Header=BB2_299 Depth=1
	s_mov_b64 s[0:1], 0
	s_mov_b64 s[10:11], 0
.LBB2_302:                              ;   Parent Loop BB2_299 Depth=1
                                        ; =>  This Inner Loop Header: Depth=2
	s_wait_xcnt 0x0
	s_add_nc_u64 s[12:13], s[4:5], s[10:11]
	s_add_nc_u64 s[10:11], s[10:11], 1
	global_load_u8 v1, v5, s[12:13]
	s_cmp_lg_u32 s8, s10
	s_wait_loadcnt 0x0
	v_and_b32_e32 v4, 0xffff, v1
	s_delay_alu instid0(VALU_DEP_1) | instskip(SKIP_1) | instid1(VALU_DEP_1)
	v_lshlrev_b64_e32 v[12:13], s0, v[4:5]
	s_add_nc_u64 s[0:1], s[0:1], 8
	v_or_b32_e32 v10, v12, v10
	s_delay_alu instid0(VALU_DEP_2)
	v_or_b32_e32 v11, v13, v11
	s_cbranch_scc1 .LBB2_302
.LBB2_303:                              ;   in Loop: Header=BB2_299 Depth=1
	s_mov_b64 s[10:11], s[4:5]
	s_mov_b32 s14, 0
	s_cbranch_execz .LBB2_305
	s_branch .LBB2_306
.LBB2_304:                              ;   in Loop: Header=BB2_299 Depth=1
	s_add_nc_u64 s[10:11], s[4:5], 8
	s_mov_b32 s14, 0
.LBB2_305:                              ;   in Loop: Header=BB2_299 Depth=1
	global_load_b64 v[10:11], v5, s[4:5]
	s_add_co_i32 s14, s8, -8
.LBB2_306:                              ;   in Loop: Header=BB2_299 Depth=1
	s_delay_alu instid0(SALU_CYCLE_1)
	s_cmp_gt_u32 s14, 7
	s_cbranch_scc1 .LBB2_311
; %bb.307:                              ;   in Loop: Header=BB2_299 Depth=1
	v_mov_b64_e32 v[12:13], 0
	s_cmp_eq_u32 s14, 0
	s_cbranch_scc1 .LBB2_310
; %bb.308:                              ;   in Loop: Header=BB2_299 Depth=1
	s_mov_b64 s[0:1], 0
	s_wait_xcnt 0x0
	s_mov_b64 s[12:13], 0
.LBB2_309:                              ;   Parent Loop BB2_299 Depth=1
                                        ; =>  This Inner Loop Header: Depth=2
	s_wait_xcnt 0x0
	s_add_nc_u64 s[22:23], s[10:11], s[12:13]
	s_add_nc_u64 s[12:13], s[12:13], 1
	global_load_u8 v1, v5, s[22:23]
	s_cmp_lg_u32 s14, s12
	s_wait_loadcnt 0x0
	v_and_b32_e32 v4, 0xffff, v1
	s_delay_alu instid0(VALU_DEP_1) | instskip(SKIP_1) | instid1(VALU_DEP_1)
	v_lshlrev_b64_e32 v[14:15], s0, v[4:5]
	s_add_nc_u64 s[0:1], s[0:1], 8
	v_or_b32_e32 v12, v14, v12
	s_delay_alu instid0(VALU_DEP_2)
	v_or_b32_e32 v13, v15, v13
	s_cbranch_scc1 .LBB2_309
.LBB2_310:                              ;   in Loop: Header=BB2_299 Depth=1
	s_wait_xcnt 0x0
	s_mov_b64 s[0:1], s[10:11]
	s_mov_b32 s15, 0
	s_cbranch_execz .LBB2_312
	s_branch .LBB2_313
.LBB2_311:                              ;   in Loop: Header=BB2_299 Depth=1
	s_add_nc_u64 s[0:1], s[10:11], 8
	s_wait_xcnt 0x0
                                        ; implicit-def: $vgpr12_vgpr13
	s_mov_b32 s15, 0
.LBB2_312:                              ;   in Loop: Header=BB2_299 Depth=1
	global_load_b64 v[12:13], v5, s[10:11]
	s_add_co_i32 s15, s14, -8
.LBB2_313:                              ;   in Loop: Header=BB2_299 Depth=1
	s_delay_alu instid0(SALU_CYCLE_1)
	s_cmp_gt_u32 s15, 7
	s_cbranch_scc1 .LBB2_318
; %bb.314:                              ;   in Loop: Header=BB2_299 Depth=1
	v_mov_b64_e32 v[14:15], 0
	s_cmp_eq_u32 s15, 0
	s_cbranch_scc1 .LBB2_317
; %bb.315:                              ;   in Loop: Header=BB2_299 Depth=1
	s_wait_xcnt 0x0
	s_mov_b64 s[10:11], 0
	s_mov_b64 s[12:13], 0
.LBB2_316:                              ;   Parent Loop BB2_299 Depth=1
                                        ; =>  This Inner Loop Header: Depth=2
	s_wait_xcnt 0x0
	s_add_nc_u64 s[22:23], s[0:1], s[12:13]
	s_add_nc_u64 s[12:13], s[12:13], 1
	global_load_u8 v1, v5, s[22:23]
	s_cmp_lg_u32 s15, s12
	s_wait_loadcnt 0x0
	v_and_b32_e32 v4, 0xffff, v1
	s_delay_alu instid0(VALU_DEP_1) | instskip(SKIP_1) | instid1(VALU_DEP_1)
	v_lshlrev_b64_e32 v[16:17], s10, v[4:5]
	s_add_nc_u64 s[10:11], s[10:11], 8
	v_or_b32_e32 v14, v16, v14
	s_delay_alu instid0(VALU_DEP_2)
	v_or_b32_e32 v15, v17, v15
	s_cbranch_scc1 .LBB2_316
.LBB2_317:                              ;   in Loop: Header=BB2_299 Depth=1
	s_wait_xcnt 0x0
	s_mov_b64 s[10:11], s[0:1]
	s_mov_b32 s14, 0
	s_cbranch_execz .LBB2_319
	s_branch .LBB2_320
.LBB2_318:                              ;   in Loop: Header=BB2_299 Depth=1
	s_wait_xcnt 0x0
	s_add_nc_u64 s[10:11], s[0:1], 8
	s_mov_b32 s14, 0
.LBB2_319:                              ;   in Loop: Header=BB2_299 Depth=1
	global_load_b64 v[14:15], v5, s[0:1]
	s_add_co_i32 s14, s15, -8
.LBB2_320:                              ;   in Loop: Header=BB2_299 Depth=1
	s_delay_alu instid0(SALU_CYCLE_1)
	s_cmp_gt_u32 s14, 7
	s_cbranch_scc1 .LBB2_325
; %bb.321:                              ;   in Loop: Header=BB2_299 Depth=1
	v_mov_b64_e32 v[16:17], 0
	s_cmp_eq_u32 s14, 0
	s_cbranch_scc1 .LBB2_324
; %bb.322:                              ;   in Loop: Header=BB2_299 Depth=1
	s_wait_xcnt 0x0
	s_mov_b64 s[0:1], 0
	s_mov_b64 s[12:13], 0
.LBB2_323:                              ;   Parent Loop BB2_299 Depth=1
                                        ; =>  This Inner Loop Header: Depth=2
	s_wait_xcnt 0x0
	s_add_nc_u64 s[22:23], s[10:11], s[12:13]
	s_add_nc_u64 s[12:13], s[12:13], 1
	global_load_u8 v1, v5, s[22:23]
	s_cmp_lg_u32 s14, s12
	s_wait_loadcnt 0x0
	v_and_b32_e32 v4, 0xffff, v1
	s_delay_alu instid0(VALU_DEP_1) | instskip(SKIP_1) | instid1(VALU_DEP_1)
	v_lshlrev_b64_e32 v[18:19], s0, v[4:5]
	s_add_nc_u64 s[0:1], s[0:1], 8
	v_or_b32_e32 v16, v18, v16
	s_delay_alu instid0(VALU_DEP_2)
	v_or_b32_e32 v17, v19, v17
	s_cbranch_scc1 .LBB2_323
.LBB2_324:                              ;   in Loop: Header=BB2_299 Depth=1
	s_wait_xcnt 0x0
	s_mov_b64 s[0:1], s[10:11]
	s_mov_b32 s15, 0
	s_cbranch_execz .LBB2_326
	s_branch .LBB2_327
.LBB2_325:                              ;   in Loop: Header=BB2_299 Depth=1
	s_wait_xcnt 0x0
	s_add_nc_u64 s[0:1], s[10:11], 8
                                        ; implicit-def: $vgpr16_vgpr17
	s_mov_b32 s15, 0
.LBB2_326:                              ;   in Loop: Header=BB2_299 Depth=1
	global_load_b64 v[16:17], v5, s[10:11]
	s_add_co_i32 s15, s14, -8
.LBB2_327:                              ;   in Loop: Header=BB2_299 Depth=1
	s_delay_alu instid0(SALU_CYCLE_1)
	s_cmp_gt_u32 s15, 7
	s_cbranch_scc1 .LBB2_332
; %bb.328:                              ;   in Loop: Header=BB2_299 Depth=1
	v_mov_b64_e32 v[18:19], 0
	s_cmp_eq_u32 s15, 0
	s_cbranch_scc1 .LBB2_331
; %bb.329:                              ;   in Loop: Header=BB2_299 Depth=1
	s_wait_xcnt 0x0
	s_mov_b64 s[10:11], 0
	s_mov_b64 s[12:13], 0
.LBB2_330:                              ;   Parent Loop BB2_299 Depth=1
                                        ; =>  This Inner Loop Header: Depth=2
	s_wait_xcnt 0x0
	s_add_nc_u64 s[22:23], s[0:1], s[12:13]
	s_add_nc_u64 s[12:13], s[12:13], 1
	global_load_u8 v1, v5, s[22:23]
	s_cmp_lg_u32 s15, s12
	s_wait_loadcnt 0x0
	v_and_b32_e32 v4, 0xffff, v1
	s_delay_alu instid0(VALU_DEP_1) | instskip(SKIP_1) | instid1(VALU_DEP_1)
	v_lshlrev_b64_e32 v[20:21], s10, v[4:5]
	s_add_nc_u64 s[10:11], s[10:11], 8
	v_or_b32_e32 v18, v20, v18
	s_delay_alu instid0(VALU_DEP_2)
	v_or_b32_e32 v19, v21, v19
	s_cbranch_scc1 .LBB2_330
.LBB2_331:                              ;   in Loop: Header=BB2_299 Depth=1
	s_wait_xcnt 0x0
	s_mov_b64 s[10:11], s[0:1]
	s_mov_b32 s14, 0
	s_cbranch_execz .LBB2_333
	s_branch .LBB2_334
.LBB2_332:                              ;   in Loop: Header=BB2_299 Depth=1
	s_wait_xcnt 0x0
	s_add_nc_u64 s[10:11], s[0:1], 8
	s_mov_b32 s14, 0
.LBB2_333:                              ;   in Loop: Header=BB2_299 Depth=1
	global_load_b64 v[18:19], v5, s[0:1]
	s_add_co_i32 s14, s15, -8
.LBB2_334:                              ;   in Loop: Header=BB2_299 Depth=1
	s_delay_alu instid0(SALU_CYCLE_1)
	s_cmp_gt_u32 s14, 7
	s_cbranch_scc1 .LBB2_339
; %bb.335:                              ;   in Loop: Header=BB2_299 Depth=1
	v_mov_b64_e32 v[20:21], 0
	s_cmp_eq_u32 s14, 0
	s_cbranch_scc1 .LBB2_338
; %bb.336:                              ;   in Loop: Header=BB2_299 Depth=1
	s_wait_xcnt 0x0
	s_mov_b64 s[0:1], 0
	s_mov_b64 s[12:13], 0
.LBB2_337:                              ;   Parent Loop BB2_299 Depth=1
                                        ; =>  This Inner Loop Header: Depth=2
	s_wait_xcnt 0x0
	s_add_nc_u64 s[22:23], s[10:11], s[12:13]
	s_add_nc_u64 s[12:13], s[12:13], 1
	global_load_u8 v1, v5, s[22:23]
	s_cmp_lg_u32 s14, s12
	s_wait_loadcnt 0x0
	v_and_b32_e32 v4, 0xffff, v1
	s_delay_alu instid0(VALU_DEP_1) | instskip(SKIP_1) | instid1(VALU_DEP_1)
	v_lshlrev_b64_e32 v[22:23], s0, v[4:5]
	s_add_nc_u64 s[0:1], s[0:1], 8
	v_or_b32_e32 v20, v22, v20
	s_delay_alu instid0(VALU_DEP_2)
	v_or_b32_e32 v21, v23, v21
	s_cbranch_scc1 .LBB2_337
.LBB2_338:                              ;   in Loop: Header=BB2_299 Depth=1
	s_wait_xcnt 0x0
	s_mov_b64 s[0:1], s[10:11]
	s_mov_b32 s15, 0
	s_cbranch_execz .LBB2_340
	s_branch .LBB2_341
.LBB2_339:                              ;   in Loop: Header=BB2_299 Depth=1
	s_wait_xcnt 0x0
	s_add_nc_u64 s[0:1], s[10:11], 8
                                        ; implicit-def: $vgpr20_vgpr21
	s_mov_b32 s15, 0
.LBB2_340:                              ;   in Loop: Header=BB2_299 Depth=1
	global_load_b64 v[20:21], v5, s[10:11]
	s_add_co_i32 s15, s14, -8
.LBB2_341:                              ;   in Loop: Header=BB2_299 Depth=1
	s_delay_alu instid0(SALU_CYCLE_1)
	s_cmp_gt_u32 s15, 7
	s_cbranch_scc1 .LBB2_346
; %bb.342:                              ;   in Loop: Header=BB2_299 Depth=1
	v_mov_b64_e32 v[22:23], 0
	s_cmp_eq_u32 s15, 0
	s_cbranch_scc1 .LBB2_345
; %bb.343:                              ;   in Loop: Header=BB2_299 Depth=1
	s_wait_xcnt 0x0
	s_mov_b64 s[10:11], 0
	s_mov_b64 s[12:13], s[0:1]
.LBB2_344:                              ;   Parent Loop BB2_299 Depth=1
                                        ; =>  This Inner Loop Header: Depth=2
	global_load_u8 v1, v5, s[12:13]
	s_add_co_i32 s15, s15, -1
	s_wait_xcnt 0x0
	s_add_nc_u64 s[12:13], s[12:13], 1
	s_cmp_lg_u32 s15, 0
	s_wait_loadcnt 0x0
	v_and_b32_e32 v4, 0xffff, v1
	s_delay_alu instid0(VALU_DEP_1) | instskip(SKIP_1) | instid1(VALU_DEP_1)
	v_lshlrev_b64_e32 v[24:25], s10, v[4:5]
	s_add_nc_u64 s[10:11], s[10:11], 8
	v_or_b32_e32 v22, v24, v22
	s_delay_alu instid0(VALU_DEP_2)
	v_or_b32_e32 v23, v25, v23
	s_cbranch_scc1 .LBB2_344
.LBB2_345:                              ;   in Loop: Header=BB2_299 Depth=1
	s_wait_xcnt 0x0
	s_cbranch_execz .LBB2_347
	s_branch .LBB2_348
.LBB2_346:                              ;   in Loop: Header=BB2_299 Depth=1
	s_wait_xcnt 0x0
.LBB2_347:                              ;   in Loop: Header=BB2_299 Depth=1
	global_load_b64 v[22:23], v5, s[0:1]
.LBB2_348:                              ;   in Loop: Header=BB2_299 Depth=1
	s_wait_xcnt 0x0
	v_readfirstlane_b32 s0, v32
	v_mov_b64_e32 v[28:29], 0
	s_delay_alu instid0(VALU_DEP_2)
	v_cmp_eq_u32_e64 s0, s0, v32
	s_and_saveexec_b32 s1, s0
	s_cbranch_execz .LBB2_354
; %bb.349:                              ;   in Loop: Header=BB2_299 Depth=1
	global_load_b64 v[26:27], v5, s[2:3] offset:24 scope:SCOPE_SYS
	s_wait_loadcnt 0x0
	global_inv scope:SCOPE_SYS
	s_clause 0x1
	global_load_b64 v[24:25], v5, s[2:3] offset:40
	global_load_b64 v[28:29], v5, s[2:3]
	s_mov_b32 s10, exec_lo
	s_wait_loadcnt 0x1
	v_and_b32_e32 v24, v24, v26
	v_and_b32_e32 v25, v25, v27
	s_delay_alu instid0(VALU_DEP_1) | instskip(SKIP_1) | instid1(VALU_DEP_1)
	v_mul_u64_e32 v[24:25], 24, v[24:25]
	s_wait_loadcnt 0x0
	v_add_nc_u64_e32 v[24:25], v[28:29], v[24:25]
	global_load_b64 v[24:25], v[24:25], off scope:SCOPE_SYS
	s_wait_xcnt 0x0
	s_wait_loadcnt 0x0
	global_atomic_cmpswap_b64 v[28:29], v5, v[24:27], s[2:3] offset:24 th:TH_ATOMIC_RETURN scope:SCOPE_SYS
	s_wait_loadcnt 0x0
	global_inv scope:SCOPE_SYS
	s_wait_xcnt 0x0
	v_cmpx_ne_u64_e64 v[28:29], v[26:27]
	s_cbranch_execz .LBB2_353
; %bb.350:                              ;   in Loop: Header=BB2_299 Depth=1
	s_mov_b32 s11, 0
.LBB2_351:                              ;   Parent Loop BB2_299 Depth=1
                                        ; =>  This Inner Loop Header: Depth=2
	s_sleep 1
	s_clause 0x1
	global_load_b64 v[24:25], v5, s[2:3] offset:40
	global_load_b64 v[30:31], v5, s[2:3]
	v_mov_b64_e32 v[26:27], v[28:29]
	s_wait_loadcnt 0x1
	s_delay_alu instid0(VALU_DEP_1) | instskip(SKIP_1) | instid1(VALU_DEP_1)
	v_and_b32_e32 v1, v24, v26
	s_wait_loadcnt 0x0
	v_mad_nc_u64_u32 v[28:29], v1, 24, v[30:31]
	s_delay_alu instid0(VALU_DEP_3) | instskip(NEXT) | instid1(VALU_DEP_1)
	v_and_b32_e32 v1, v25, v27
	v_mad_u32 v29, v1, 24, v29
	global_load_b64 v[24:25], v[28:29], off scope:SCOPE_SYS
	s_wait_xcnt 0x0
	s_wait_loadcnt 0x0
	global_atomic_cmpswap_b64 v[28:29], v5, v[24:27], s[2:3] offset:24 th:TH_ATOMIC_RETURN scope:SCOPE_SYS
	s_wait_loadcnt 0x0
	global_inv scope:SCOPE_SYS
	v_cmp_eq_u64_e32 vcc_lo, v[28:29], v[26:27]
	s_or_b32 s11, vcc_lo, s11
	s_wait_xcnt 0x0
	s_and_not1_b32 exec_lo, exec_lo, s11
	s_cbranch_execnz .LBB2_351
; %bb.352:                              ;   in Loop: Header=BB2_299 Depth=1
	s_or_b32 exec_lo, exec_lo, s11
.LBB2_353:                              ;   in Loop: Header=BB2_299 Depth=1
	s_delay_alu instid0(SALU_CYCLE_1)
	s_or_b32 exec_lo, exec_lo, s10
.LBB2_354:                              ;   in Loop: Header=BB2_299 Depth=1
	s_delay_alu instid0(SALU_CYCLE_1)
	s_or_b32 exec_lo, exec_lo, s1
	s_clause 0x1
	global_load_b64 v[30:31], v5, s[2:3] offset:40
	global_load_b128 v[24:27], v5, s[2:3]
	v_readfirstlane_b32 s10, v28
	v_readfirstlane_b32 s11, v29
	s_mov_b32 s1, exec_lo
	s_wait_loadcnt 0x1
	v_and_b32_e32 v30, s10, v30
	v_and_b32_e32 v31, s11, v31
	s_delay_alu instid0(VALU_DEP_1) | instskip(SKIP_1) | instid1(VALU_DEP_1)
	v_mul_u64_e32 v[28:29], 24, v[30:31]
	s_wait_loadcnt 0x0
	v_add_nc_u64_e32 v[28:29], v[24:25], v[28:29]
	s_wait_xcnt 0x0
	s_and_saveexec_b32 s12, s0
	s_cbranch_execz .LBB2_356
; %bb.355:                              ;   in Loop: Header=BB2_299 Depth=1
	v_mov_b32_e32 v4, s1
	global_store_b128 v[28:29], v[4:7], off offset:8
.LBB2_356:                              ;   in Loop: Header=BB2_299 Depth=1
	s_wait_xcnt 0x0
	s_or_b32 exec_lo, exec_lo, s12
	v_cmp_gt_u64_e64 s1, s[6:7], 56
	v_lshlrev_b64_e32 v[30:31], 12, v[30:31]
	v_and_b32_e32 v1, 0xffffff1f, v8
	s_and_b32 s1, s1, exec_lo
	s_delay_alu instid0(VALU_DEP_2) | instskip(SKIP_4) | instid1(VALU_DEP_2)
	v_add_nc_u64_e32 v[26:27], v[26:27], v[30:31]
	s_cselect_b32 s1, 0, 2
	s_lshl_b32 s12, s8, 2
	v_or_b32_e32 v1, s1, v1
	s_add_co_i32 s1, s12, 28
	v_readfirstlane_b32 s12, v26
	s_delay_alu instid0(VALU_DEP_3) | instskip(NEXT) | instid1(VALU_DEP_3)
	v_readfirstlane_b32 s13, v27
	v_and_or_b32 v8, 0x1e0, s1, v1
	s_clause 0x3
	global_store_b128 v0, v[8:11], s[12:13]
	global_store_b128 v0, v[12:15], s[12:13] offset:16
	global_store_b128 v0, v[16:19], s[12:13] offset:32
	;; [unrolled: 1-line block ×3, first 2 shown]
	s_wait_xcnt 0x0
	s_and_saveexec_b32 s1, s0
	s_cbranch_execz .LBB2_364
; %bb.357:                              ;   in Loop: Header=BB2_299 Depth=1
	s_clause 0x1
	global_load_b64 v[16:17], v5, s[2:3] offset:32 scope:SCOPE_SYS
	global_load_b64 v[8:9], v5, s[2:3] offset:40
	s_mov_b32 s12, exec_lo
	v_dual_mov_b32 v14, s10 :: v_dual_mov_b32 v15, s11
	s_wait_loadcnt 0x0
	v_and_b32_e32 v9, s11, v9
	v_and_b32_e32 v8, s10, v8
	s_delay_alu instid0(VALU_DEP_1) | instskip(NEXT) | instid1(VALU_DEP_1)
	v_mul_u64_e32 v[8:9], 24, v[8:9]
	v_add_nc_u64_e32 v[12:13], v[24:25], v[8:9]
	global_store_b64 v[12:13], v[16:17], off
	global_wb scope:SCOPE_SYS
	s_wait_storecnt 0x0
	s_wait_xcnt 0x0
	global_atomic_cmpswap_b64 v[10:11], v5, v[14:17], s[2:3] offset:32 th:TH_ATOMIC_RETURN scope:SCOPE_SYS
	s_wait_loadcnt 0x0
	v_cmpx_ne_u64_e64 v[10:11], v[16:17]
	s_cbranch_execz .LBB2_360
; %bb.358:                              ;   in Loop: Header=BB2_299 Depth=1
	s_mov_b32 s13, 0
.LBB2_359:                              ;   Parent Loop BB2_299 Depth=1
                                        ; =>  This Inner Loop Header: Depth=2
	v_dual_mov_b32 v8, s10 :: v_dual_mov_b32 v9, s11
	s_sleep 1
	global_store_b64 v[12:13], v[10:11], off
	global_wb scope:SCOPE_SYS
	s_wait_storecnt 0x0
	s_wait_xcnt 0x0
	global_atomic_cmpswap_b64 v[8:9], v5, v[8:11], s[2:3] offset:32 th:TH_ATOMIC_RETURN scope:SCOPE_SYS
	s_wait_loadcnt 0x0
	v_cmp_eq_u64_e32 vcc_lo, v[8:9], v[10:11]
	v_mov_b64_e32 v[10:11], v[8:9]
	s_or_b32 s13, vcc_lo, s13
	s_delay_alu instid0(SALU_CYCLE_1)
	s_and_not1_b32 exec_lo, exec_lo, s13
	s_cbranch_execnz .LBB2_359
.LBB2_360:                              ;   in Loop: Header=BB2_299 Depth=1
	s_or_b32 exec_lo, exec_lo, s12
	global_load_b64 v[8:9], v5, s[2:3] offset:16
	s_mov_b32 s13, exec_lo
	s_mov_b32 s12, exec_lo
	v_mbcnt_lo_u32_b32 v1, s13, 0
	s_wait_xcnt 0x0
	s_delay_alu instid0(VALU_DEP_1)
	v_cmpx_eq_u32_e32 0, v1
	s_cbranch_execz .LBB2_362
; %bb.361:                              ;   in Loop: Header=BB2_299 Depth=1
	s_bcnt1_i32_b32 s13, s13
	s_delay_alu instid0(SALU_CYCLE_1)
	v_mov_b32_e32 v4, s13
	global_wb scope:SCOPE_SYS
	s_wait_loadcnt 0x0
	s_wait_storecnt 0x0
	global_atomic_add_u64 v[8:9], v[4:5], off offset:8 scope:SCOPE_SYS
.LBB2_362:                              ;   in Loop: Header=BB2_299 Depth=1
	s_wait_xcnt 0x0
	s_or_b32 exec_lo, exec_lo, s12
	s_wait_loadcnt 0x0
	global_load_b64 v[10:11], v[8:9], off offset:16
	s_wait_loadcnt 0x0
	v_cmp_eq_u64_e32 vcc_lo, 0, v[10:11]
	s_cbranch_vccnz .LBB2_364
; %bb.363:                              ;   in Loop: Header=BB2_299 Depth=1
	global_load_b32 v4, v[8:9], off offset:24
	s_wait_loadcnt 0x0
	v_readfirstlane_b32 s12, v4
	global_wb scope:SCOPE_SYS
	s_wait_storecnt 0x0
	s_wait_xcnt 0x0
	global_store_b64 v[10:11], v[4:5], off scope:SCOPE_SYS
	s_and_b32 m0, s12, 0xffffff
	s_sendmsg sendmsg(MSG_INTERRUPT)
.LBB2_364:                              ;   in Loop: Header=BB2_299 Depth=1
	s_wait_xcnt 0x0
	s_or_b32 exec_lo, exec_lo, s1
	v_mov_b32_e32 v1, v5
	s_delay_alu instid0(VALU_DEP_1)
	v_add_nc_u64_e32 v[8:9], v[26:27], v[0:1]
	s_branch .LBB2_366
.LBB2_365:                              ;   in Loop: Header=BB2_299 Depth=1
	s_branch .LBB2_370
.LBB2_366:                              ;   Parent Loop BB2_299 Depth=1
                                        ; =>  This Inner Loop Header: Depth=2
	v_mov_b32_e32 v1, 1
	s_and_saveexec_b32 s1, s0
	s_cbranch_execz .LBB2_368
; %bb.367:                              ;   in Loop: Header=BB2_366 Depth=2
	global_load_b32 v1, v[28:29], off offset:20 scope:SCOPE_SYS
	s_wait_loadcnt 0x0
	global_inv scope:SCOPE_SYS
	v_and_b32_e32 v1, 1, v1
.LBB2_368:                              ;   in Loop: Header=BB2_366 Depth=2
	s_wait_xcnt 0x0
	s_or_b32 exec_lo, exec_lo, s1
	s_delay_alu instid0(VALU_DEP_1)
	v_readfirstlane_b32 s1, v1
	s_cmp_eq_u32 s1, 0
	s_cbranch_scc1 .LBB2_365
; %bb.369:                              ;   in Loop: Header=BB2_366 Depth=2
	s_sleep 1
	s_cbranch_execnz .LBB2_366
.LBB2_370:                              ;   in Loop: Header=BB2_299 Depth=1
	global_load_b128 v[8:11], v[8:9], off
	s_wait_xcnt 0x0
	s_and_saveexec_b32 s12, s0
	s_cbranch_execz .LBB2_298
; %bb.371:                              ;   in Loop: Header=BB2_299 Depth=1
	s_wait_loadcnt 0x0
	s_clause 0x2
	global_load_b64 v[10:11], v5, s[2:3] offset:40
	global_load_b64 v[18:19], v5, s[2:3] offset:24 scope:SCOPE_SYS
	global_load_b64 v[12:13], v5, s[2:3]
	s_wait_loadcnt 0x2
	v_readfirstlane_b32 s14, v10
	v_readfirstlane_b32 s15, v11
	s_add_nc_u64 s[0:1], s[14:15], 1
	s_delay_alu instid0(SALU_CYCLE_1) | instskip(NEXT) | instid1(SALU_CYCLE_1)
	s_add_nc_u64 s[10:11], s[0:1], s[10:11]
	s_cmp_eq_u64 s[10:11], 0
	s_cselect_b32 s1, s1, s11
	s_cselect_b32 s0, s0, s10
	s_delay_alu instid0(SALU_CYCLE_1) | instskip(SKIP_1) | instid1(SALU_CYCLE_1)
	v_dual_mov_b32 v17, s1 :: v_dual_mov_b32 v16, s0
	s_and_b64 s[10:11], s[0:1], s[14:15]
	s_mul_u64 s[10:11], s[10:11], 24
	s_wait_loadcnt 0x0
	v_add_nc_u64_e32 v[14:15], s[10:11], v[12:13]
	global_store_b64 v[14:15], v[18:19], off
	global_wb scope:SCOPE_SYS
	s_wait_storecnt 0x0
	s_wait_xcnt 0x0
	global_atomic_cmpswap_b64 v[12:13], v5, v[16:19], s[2:3] offset:24 th:TH_ATOMIC_RETURN scope:SCOPE_SYS
	s_wait_loadcnt 0x0
	v_cmp_ne_u64_e32 vcc_lo, v[12:13], v[18:19]
	s_and_b32 exec_lo, exec_lo, vcc_lo
	s_cbranch_execz .LBB2_298
; %bb.372:                              ;   in Loop: Header=BB2_299 Depth=1
	s_mov_b32 s10, 0
.LBB2_373:                              ;   Parent Loop BB2_299 Depth=1
                                        ; =>  This Inner Loop Header: Depth=2
	v_dual_mov_b32 v10, s0 :: v_dual_mov_b32 v11, s1
	s_sleep 1
	global_store_b64 v[14:15], v[12:13], off
	global_wb scope:SCOPE_SYS
	s_wait_storecnt 0x0
	s_wait_xcnt 0x0
	global_atomic_cmpswap_b64 v[10:11], v5, v[10:13], s[2:3] offset:24 th:TH_ATOMIC_RETURN scope:SCOPE_SYS
	s_wait_loadcnt 0x0
	v_cmp_eq_u64_e32 vcc_lo, v[10:11], v[12:13]
	v_mov_b64_e32 v[12:13], v[10:11]
	s_or_b32 s10, vcc_lo, s10
	s_delay_alu instid0(SALU_CYCLE_1)
	s_and_not1_b32 exec_lo, exec_lo, s10
	s_cbranch_execnz .LBB2_373
	s_branch .LBB2_298
.LBB2_374:
	s_branch .LBB2_403
.LBB2_375:
	s_cbranch_execz .LBB2_403
; %bb.376:
	v_readfirstlane_b32 s0, v32
	s_wait_loadcnt 0x0
	v_mov_b64_e32 v[10:11], 0
	s_delay_alu instid0(VALU_DEP_2)
	v_cmp_eq_u32_e64 s0, s0, v32
	s_and_saveexec_b32 s1, s0
	s_cbranch_execz .LBB2_382
; %bb.377:
	v_mov_b32_e32 v1, 0
	s_mov_b32 s4, exec_lo
	global_load_b64 v[6:7], v1, s[2:3] offset:24 scope:SCOPE_SYS
	s_wait_loadcnt 0x0
	global_inv scope:SCOPE_SYS
	s_clause 0x1
	global_load_b64 v[4:5], v1, s[2:3] offset:40
	global_load_b64 v[8:9], v1, s[2:3]
	s_wait_loadcnt 0x1
	v_and_b32_e32 v4, v4, v6
	v_and_b32_e32 v5, v5, v7
	s_delay_alu instid0(VALU_DEP_1) | instskip(SKIP_1) | instid1(VALU_DEP_1)
	v_mul_u64_e32 v[4:5], 24, v[4:5]
	s_wait_loadcnt 0x0
	v_add_nc_u64_e32 v[4:5], v[8:9], v[4:5]
	global_load_b64 v[4:5], v[4:5], off scope:SCOPE_SYS
	s_wait_xcnt 0x0
	s_wait_loadcnt 0x0
	global_atomic_cmpswap_b64 v[10:11], v1, v[4:7], s[2:3] offset:24 th:TH_ATOMIC_RETURN scope:SCOPE_SYS
	s_wait_loadcnt 0x0
	global_inv scope:SCOPE_SYS
	s_wait_xcnt 0x0
	v_cmpx_ne_u64_e64 v[10:11], v[6:7]
	s_cbranch_execz .LBB2_381
; %bb.378:
	s_mov_b32 s5, 0
.LBB2_379:                              ; =>This Inner Loop Header: Depth=1
	s_sleep 1
	s_clause 0x1
	global_load_b64 v[4:5], v1, s[2:3] offset:40
	global_load_b64 v[8:9], v1, s[2:3]
	v_mov_b64_e32 v[6:7], v[10:11]
	s_wait_loadcnt 0x1
	s_delay_alu instid0(VALU_DEP_1) | instskip(SKIP_1) | instid1(VALU_DEP_1)
	v_and_b32_e32 v4, v4, v6
	s_wait_loadcnt 0x0
	v_mad_nc_u64_u32 v[8:9], v4, 24, v[8:9]
	s_delay_alu instid0(VALU_DEP_3) | instskip(NEXT) | instid1(VALU_DEP_1)
	v_and_b32_e32 v4, v5, v7
	v_mad_u32 v9, v4, 24, v9
	global_load_b64 v[4:5], v[8:9], off scope:SCOPE_SYS
	s_wait_xcnt 0x0
	s_wait_loadcnt 0x0
	global_atomic_cmpswap_b64 v[10:11], v1, v[4:7], s[2:3] offset:24 th:TH_ATOMIC_RETURN scope:SCOPE_SYS
	s_wait_loadcnt 0x0
	global_inv scope:SCOPE_SYS
	v_cmp_eq_u64_e32 vcc_lo, v[10:11], v[6:7]
	s_or_b32 s5, vcc_lo, s5
	s_wait_xcnt 0x0
	s_and_not1_b32 exec_lo, exec_lo, s5
	s_cbranch_execnz .LBB2_379
; %bb.380:
	s_or_b32 exec_lo, exec_lo, s5
.LBB2_381:
	s_delay_alu instid0(SALU_CYCLE_1)
	s_or_b32 exec_lo, exec_lo, s4
.LBB2_382:
	s_delay_alu instid0(SALU_CYCLE_1)
	s_or_b32 exec_lo, exec_lo, s1
	v_readfirstlane_b32 s4, v10
	v_mov_b32_e32 v4, 0
	v_readfirstlane_b32 s5, v11
	s_mov_b32 s1, exec_lo
	s_clause 0x1
	global_load_b64 v[12:13], v4, s[2:3] offset:40
	global_load_b128 v[6:9], v4, s[2:3]
	s_wait_loadcnt 0x1
	v_and_b32_e32 v12, s4, v12
	v_and_b32_e32 v13, s5, v13
	s_delay_alu instid0(VALU_DEP_1) | instskip(SKIP_1) | instid1(VALU_DEP_1)
	v_mul_u64_e32 v[10:11], 24, v[12:13]
	s_wait_loadcnt 0x0
	v_add_nc_u64_e32 v[10:11], v[6:7], v[10:11]
	s_wait_xcnt 0x0
	s_and_saveexec_b32 s6, s0
	s_cbranch_execz .LBB2_384
; %bb.383:
	v_mov_b64_e32 v[16:17], 0x100000002
	v_dual_mov_b32 v14, s1 :: v_dual_mov_b32 v15, v4
	global_store_b128 v[10:11], v[14:17], off offset:8
.LBB2_384:
	s_wait_xcnt 0x0
	s_or_b32 exec_lo, exec_lo, s6
	v_lshlrev_b64_e32 v[12:13], 12, v[12:13]
	s_mov_b32 s8, 0
	v_and_or_b32 v2, 0xffffff1d, v2, 34
	s_mov_b32 s10, s8
	s_mov_b32 s11, s8
	;; [unrolled: 1-line block ×3, first 2 shown]
	v_mov_b32_e32 v5, v4
	v_add_nc_u64_e32 v[8:9], v[8:9], v[12:13]
	v_mov_b64_e32 v[14:15], s[10:11]
	v_mov_b64_e32 v[12:13], s[8:9]
	s_delay_alu instid0(VALU_DEP_3) | instskip(NEXT) | instid1(VALU_DEP_4)
	v_readfirstlane_b32 s6, v8
	v_readfirstlane_b32 s7, v9
	s_clause 0x3
	global_store_b128 v0, v[2:5], s[6:7]
	global_store_b128 v0, v[12:15], s[6:7] offset:16
	global_store_b128 v0, v[12:15], s[6:7] offset:32
	;; [unrolled: 1-line block ×3, first 2 shown]
	s_wait_xcnt 0x0
	s_and_saveexec_b32 s1, s0
	s_cbranch_execz .LBB2_392
; %bb.385:
	v_dual_mov_b32 v8, 0 :: v_dual_mov_b32 v13, s5
	s_mov_b32 s6, exec_lo
	s_clause 0x1
	global_load_b64 v[14:15], v8, s[2:3] offset:32 scope:SCOPE_SYS
	global_load_b64 v[0:1], v8, s[2:3] offset:40
	s_wait_loadcnt 0x0
	v_dual_mov_b32 v12, s4 :: v_dual_bitop2_b32 v1, s5, v1 bitop3:0x40
	v_and_b32_e32 v0, s4, v0
	s_delay_alu instid0(VALU_DEP_1) | instskip(NEXT) | instid1(VALU_DEP_1)
	v_mul_u64_e32 v[0:1], 24, v[0:1]
	v_add_nc_u64_e32 v[4:5], v[6:7], v[0:1]
	global_store_b64 v[4:5], v[14:15], off
	global_wb scope:SCOPE_SYS
	s_wait_storecnt 0x0
	s_wait_xcnt 0x0
	global_atomic_cmpswap_b64 v[2:3], v8, v[12:15], s[2:3] offset:32 th:TH_ATOMIC_RETURN scope:SCOPE_SYS
	s_wait_loadcnt 0x0
	v_cmpx_ne_u64_e64 v[2:3], v[14:15]
	s_cbranch_execz .LBB2_388
; %bb.386:
	s_mov_b32 s7, 0
.LBB2_387:                              ; =>This Inner Loop Header: Depth=1
	v_dual_mov_b32 v0, s4 :: v_dual_mov_b32 v1, s5
	s_sleep 1
	global_store_b64 v[4:5], v[2:3], off
	global_wb scope:SCOPE_SYS
	s_wait_storecnt 0x0
	s_wait_xcnt 0x0
	global_atomic_cmpswap_b64 v[0:1], v8, v[0:3], s[2:3] offset:32 th:TH_ATOMIC_RETURN scope:SCOPE_SYS
	s_wait_loadcnt 0x0
	v_cmp_eq_u64_e32 vcc_lo, v[0:1], v[2:3]
	v_mov_b64_e32 v[2:3], v[0:1]
	s_or_b32 s7, vcc_lo, s7
	s_delay_alu instid0(SALU_CYCLE_1)
	s_and_not1_b32 exec_lo, exec_lo, s7
	s_cbranch_execnz .LBB2_387
.LBB2_388:
	s_or_b32 exec_lo, exec_lo, s6
	v_mov_b32_e32 v3, 0
	s_mov_b32 s7, exec_lo
	s_mov_b32 s6, exec_lo
	v_mbcnt_lo_u32_b32 v2, s7, 0
	global_load_b64 v[0:1], v3, s[2:3] offset:16
	s_wait_xcnt 0x0
	v_cmpx_eq_u32_e32 0, v2
	s_cbranch_execz .LBB2_390
; %bb.389:
	s_bcnt1_i32_b32 s7, s7
	s_delay_alu instid0(SALU_CYCLE_1)
	v_mov_b32_e32 v2, s7
	global_wb scope:SCOPE_SYS
	s_wait_loadcnt 0x0
	s_wait_storecnt 0x0
	global_atomic_add_u64 v[0:1], v[2:3], off offset:8 scope:SCOPE_SYS
.LBB2_390:
	s_wait_xcnt 0x0
	s_or_b32 exec_lo, exec_lo, s6
	s_wait_loadcnt 0x0
	global_load_b64 v[2:3], v[0:1], off offset:16
	s_wait_loadcnt 0x0
	v_cmp_eq_u64_e32 vcc_lo, 0, v[2:3]
	s_cbranch_vccnz .LBB2_392
; %bb.391:
	global_load_b32 v0, v[0:1], off offset:24
	s_wait_xcnt 0x0
	v_mov_b32_e32 v1, 0
	s_wait_loadcnt 0x0
	v_readfirstlane_b32 s6, v0
	global_wb scope:SCOPE_SYS
	s_wait_storecnt 0x0
	global_store_b64 v[2:3], v[0:1], off scope:SCOPE_SYS
	s_and_b32 m0, s6, 0xffffff
	s_sendmsg sendmsg(MSG_INTERRUPT)
.LBB2_392:
	s_wait_xcnt 0x0
	s_or_b32 exec_lo, exec_lo, s1
	s_branch .LBB2_394
.LBB2_393:
	s_branch .LBB2_398
.LBB2_394:                              ; =>This Inner Loop Header: Depth=1
	v_mov_b32_e32 v0, 1
	s_and_saveexec_b32 s1, s0
	s_cbranch_execz .LBB2_396
; %bb.395:                              ;   in Loop: Header=BB2_394 Depth=1
	global_load_b32 v0, v[10:11], off offset:20 scope:SCOPE_SYS
	s_wait_loadcnt 0x0
	global_inv scope:SCOPE_SYS
	v_and_b32_e32 v0, 1, v0
.LBB2_396:                              ;   in Loop: Header=BB2_394 Depth=1
	s_wait_xcnt 0x0
	s_or_b32 exec_lo, exec_lo, s1
	s_delay_alu instid0(VALU_DEP_1)
	v_readfirstlane_b32 s1, v0
	s_cmp_eq_u32 s1, 0
	s_cbranch_scc1 .LBB2_393
; %bb.397:                              ;   in Loop: Header=BB2_394 Depth=1
	s_sleep 1
	s_cbranch_execnz .LBB2_394
.LBB2_398:
	s_and_saveexec_b32 s6, s0
	s_cbranch_execz .LBB2_402
; %bb.399:
	v_mov_b32_e32 v6, 0
	s_clause 0x2
	global_load_b64 v[0:1], v6, s[2:3] offset:40
	global_load_b64 v[10:11], v6, s[2:3] offset:24 scope:SCOPE_SYS
	global_load_b64 v[2:3], v6, s[2:3]
	s_wait_loadcnt 0x2
	v_readfirstlane_b32 s8, v0
	v_readfirstlane_b32 s9, v1
	s_add_nc_u64 s[0:1], s[8:9], 1
	s_delay_alu instid0(SALU_CYCLE_1) | instskip(NEXT) | instid1(SALU_CYCLE_1)
	s_add_nc_u64 s[4:5], s[0:1], s[4:5]
	s_cmp_eq_u64 s[4:5], 0
	s_cselect_b32 s1, s1, s5
	s_cselect_b32 s0, s0, s4
	v_mov_b32_e32 v9, s1
	s_and_b64 s[4:5], s[0:1], s[8:9]
	v_mov_b32_e32 v8, s0
	s_mul_u64 s[4:5], s[4:5], 24
	s_wait_loadcnt 0x0
	v_add_nc_u64_e32 v[4:5], s[4:5], v[2:3]
	global_store_b64 v[4:5], v[10:11], off
	global_wb scope:SCOPE_SYS
	s_wait_storecnt 0x0
	s_wait_xcnt 0x0
	global_atomic_cmpswap_b64 v[2:3], v6, v[8:11], s[2:3] offset:24 th:TH_ATOMIC_RETURN scope:SCOPE_SYS
	s_wait_loadcnt 0x0
	v_cmp_ne_u64_e32 vcc_lo, v[2:3], v[10:11]
	s_and_b32 exec_lo, exec_lo, vcc_lo
	s_cbranch_execz .LBB2_402
; %bb.400:
	s_mov_b32 s4, 0
.LBB2_401:                              ; =>This Inner Loop Header: Depth=1
	v_dual_mov_b32 v0, s0 :: v_dual_mov_b32 v1, s1
	s_sleep 1
	global_store_b64 v[4:5], v[2:3], off
	global_wb scope:SCOPE_SYS
	s_wait_storecnt 0x0
	s_wait_xcnt 0x0
	global_atomic_cmpswap_b64 v[0:1], v6, v[0:3], s[2:3] offset:24 th:TH_ATOMIC_RETURN scope:SCOPE_SYS
	s_wait_loadcnt 0x0
	v_cmp_eq_u64_e32 vcc_lo, v[0:1], v[2:3]
	v_mov_b64_e32 v[2:3], v[0:1]
	s_or_b32 s4, vcc_lo, s4
	s_delay_alu instid0(SALU_CYCLE_1)
	s_and_not1_b32 exec_lo, exec_lo, s4
	s_cbranch_execnz .LBB2_401
.LBB2_402:
	s_or_b32 exec_lo, exec_lo, s6
.LBB2_403:
	s_get_pc_i64 s[0:1]
	s_add_nc_u64 s[0:1], s[0:1], .str.29@rel64+4
	s_get_pc_i64 s[2:3]
	s_add_nc_u64 s[2:3], s[2:3], .str.19@rel64+4
	s_get_pc_i64 s[4:5]
	s_add_nc_u64 s[4:5], s[4:5], __PRETTY_FUNCTION__._ZN7VecsMemIjLi8192EE5fetchEi@rel64+4
	v_dual_mov_b32 v0, s0 :: v_dual_mov_b32 v1, s1
	s_wait_loadcnt 0x0
	v_dual_mov_b32 v2, s2 :: v_dual_mov_b32 v3, s3
	v_dual_mov_b32 v4, 12 :: v_dual_mov_b32 v5, s4
	v_mov_b32_e32 v6, s5
	s_get_pc_i64 s[6:7]
	s_add_nc_u64 s[6:7], s[6:7], __assert_fail@rel64+4
	s_mov_b64 s[8:9], s[34:35]
	s_swap_pc_i64 s[30:31], s[6:7]
	s_or_b32 s0, s17, exec_lo
.LBB2_404:
	s_or_b32 exec_lo, exec_lo, s21
	v_dual_mov_b32 v64, -1 :: v_dual_mov_b32 v55, -1
	s_and_not1_b32 s1, s18, exec_lo
	s_and_b32 s2, s20, exec_lo
	s_and_not1_b32 s3, s17, exec_lo
	s_and_b32 s0, s0, exec_lo
	s_or_b32 s18, s1, s2
	s_or_b32 s17, s3, s0
.LBB2_405:
	s_or_b32 exec_lo, exec_lo, s19
	s_delay_alu instid0(SALU_CYCLE_1)
	s_and_not1_b32 s2, s36, exec_lo
	s_and_b32 s3, s17, exec_lo
	s_and_b32 s0, s18, exec_lo
	s_xor_b32 s1, exec_lo, -1
	s_or_b32 s2, s2, s3
.LBB2_406:
	s_or_b32 exec_lo, exec_lo, s38
	s_delay_alu instid0(SALU_CYCLE_1)
	s_and_not1_b32 s3, s36, exec_lo
	s_and_b32 s2, s2, exec_lo
	s_and_b32 s0, s0, exec_lo
	;; [unrolled: 1-line block ×3, first 2 shown]
	s_or_b32 s36, s3, s2
	s_or_b32 exec_lo, exec_lo, s37
	s_and_saveexec_b32 s1, s36
	s_delay_alu instid0(SALU_CYCLE_1)
	s_xor_b32 s1, exec_lo, s1
	s_cbranch_execnz .LBB2_8
.LBB2_407:
	s_or_b32 exec_lo, exec_lo, s1
	s_and_saveexec_b32 s1, s17
	s_cbranch_execz .LBB2_409
.LBB2_408:
	v_mov_b32_e32 v64, 0
	s_or_b32 s0, s0, exec_lo
	s_delay_alu instid0(VALU_DEP_1)
	v_dual_mov_b32 v65, v64 :: v_dual_mov_b32 v66, v64
	v_dual_mov_b32 v67, v64 :: v_dual_mov_b32 v55, v64
	flat_store_b128 v[46:47], v[64:67]
.LBB2_409:
	s_wait_xcnt 0x0
	s_or_b32 exec_lo, exec_lo, s1
	s_and_saveexec_b32 s1, s0
; %bb.410:
	v_mov_b32_e32 v55, v64
; %bb.411:
	s_or_b32 exec_lo, exec_lo, s1
	s_clause 0xf
	scratch_load_b32 v63, off, s33
	scratch_load_b32 v62, off, s33 offset:4
	scratch_load_b32 v61, off, s33 offset:8
	;; [unrolled: 1-line block ×15, first 2 shown]
	v_readlane_b32 s30, v72, 11
	v_mov_b32_e32 v0, v55
	v_readlane_b32 s31, v72, 12
	v_readlane_b32 s53, v72, 10
	;; [unrolled: 1-line block ×12, first 2 shown]
	s_mov_b32 s32, s33
	v_readlane_b32 s0, v72, 13
	s_wait_xcnt 0x0
	s_or_saveexec_b32 s1, -1
	scratch_load_b32 v72, off, s33 offset:112 ; 4-byte Folded Reload
	s_wait_xcnt 0x0
	s_mov_b32 exec_lo, s1
	s_mov_b32 s33, s0
	s_wait_loadcnt_dscnt 0x0
	s_set_pc_i64 s[30:31]
.Lfunc_end2:
	.size	_ZN3sop14minatoIsop5RecEjjiPNS_3SopEP7VecsMemIjLi8192EE, .Lfunc_end2-_ZN3sop14minatoIsop5RecEjjiPNS_3SopEP7VecsMemIjLi8192EE
                                        ; -- End function
	.set .L_ZN3sop14minatoIsop5RecEjjiPNS_3SopEP7VecsMemIjLi8192EE.num_vgpr, max(73, .L__assert_fail.num_vgpr)
	.set .L_ZN3sop14minatoIsop5RecEjjiPNS_3SopEP7VecsMemIjLi8192EE.num_agpr, max(0, .L__assert_fail.num_agpr)
	.set .L_ZN3sop14minatoIsop5RecEjjiPNS_3SopEP7VecsMemIjLi8192EE.numbered_sgpr, max(54, .L__assert_fail.numbered_sgpr)
	.set .L_ZN3sop14minatoIsop5RecEjjiPNS_3SopEP7VecsMemIjLi8192EE.num_named_barrier, max(0, .L__assert_fail.num_named_barrier)
	.set .L_ZN3sop14minatoIsop5RecEjjiPNS_3SopEP7VecsMemIjLi8192EE.private_seg_size, 128+max(.L__assert_fail.private_seg_size)
	.set .L_ZN3sop14minatoIsop5RecEjjiPNS_3SopEP7VecsMemIjLi8192EE.uses_vcc, or(1, .L__assert_fail.uses_vcc)
	.set .L_ZN3sop14minatoIsop5RecEjjiPNS_3SopEP7VecsMemIjLi8192EE.uses_flat_scratch, or(1, .L__assert_fail.uses_flat_scratch)
	.set .L_ZN3sop14minatoIsop5RecEjjiPNS_3SopEP7VecsMemIjLi8192EE.has_dyn_sized_stack, or(0, .L__assert_fail.has_dyn_sized_stack)
	.set .L_ZN3sop14minatoIsop5RecEjjiPNS_3SopEP7VecsMemIjLi8192EE.has_recursion, or(1, .L__assert_fail.has_recursion)
	.set .L_ZN3sop14minatoIsop5RecEjjiPNS_3SopEP7VecsMemIjLi8192EE.has_indirect_call, or(0, .L__assert_fail.has_indirect_call)
	.section	.AMDGPU.csdata,"",@progbits
; Function info:
; codeLenInByte = 15524
; TotalNumSgprs: 56
; NumVgprs: 73
; ScratchSize: 192
; MemoryBound: 0
	.text
	.p2align	2                               ; -- Begin function _ZN3sop13minatoIsopRecEPKjS1_iPNS_3SopEP7VecsMemIjLi8192EE
	.type	_ZN3sop13minatoIsopRecEPKjS1_iPNS_3SopEP7VecsMemIjLi8192EE,@function
_ZN3sop13minatoIsopRecEPKjS1_iPNS_3SopEP7VecsMemIjLi8192EE: ; @_ZN3sop13minatoIsopRecEPKjS1_iPNS_3SopEP7VecsMemIjLi8192EE
; %bb.0:
	s_wait_loadcnt_dscnt 0x0
	s_wait_kmcnt 0x0
	s_mov_b32 s0, s33
	s_mov_b32 s33, s32
	s_or_saveexec_b32 s1, -1
	scratch_store_b32 off, v90, s33 offset:152 ; 4-byte Folded Spill
	s_wait_xcnt 0x0
	s_mov_b32 exec_lo, s1
	v_writelane_b32 v90, s0, 26
	s_addk_co_i32 s32, 0xa0
	s_clause 0x19
	scratch_store_b32 off, v40, s33 offset:100
	; meta instruction
	scratch_store_b32 off, v41, s33 offset:96
	; meta instruction
	;; [unrolled: 2-line block ×25, first 2 shown]
	scratch_store_b32 off, v89, s33
	v_writelane_b32 v90, s34, 0
	v_writelane_b32 v90, s35, 1
	;; [unrolled: 1-line block ×26, first 2 shown]
	s_wait_xcnt 0x12
	v_dual_mov_b32 v47, v1 :: v_dual_mov_b32 v46, v0
	v_add_nc_u32_e32 v0, -5, v4
	v_cmp_lt_i32_e32 vcc_lo, 5, v4
	v_mov_b64_e32 v[42:43], 0
	s_wait_xcnt 0xa
	v_dual_mov_b32 v63, v8 :: v_dual_mov_b32 v62, v7
	v_lshlrev_b32_e64 v0, v0, 1
	s_wait_xcnt 0x8
	v_dual_mov_b32 v73, v6 :: v_dual_mov_b32 v72, v5
	v_dual_mov_b32 v45, v3 :: v_dual_mov_b32 v44, v2
	s_wait_xcnt 0x7
	v_cndmask_b32_e32 v74, 1, v0, vcc_lo
	s_mov_b32 s51, 0
	s_mov_b32 s0, -1
	s_mov_b32 s17, exec_lo
	s_wait_xcnt 0x0
	v_cmpx_lt_i32_e32 0, v74
	s_cbranch_execnz .LBB3_5
; %bb.1:
	s_or_b32 exec_lo, exec_lo, s17
	s_and_saveexec_b32 s64, s0
	s_cbranch_execnz .LBB3_143
.LBB3_2:
	s_or_b32 exec_lo, exec_lo, s64
	s_and_saveexec_b32 s0, s51
.LBB3_3:
	; divergent unreachable
.LBB3_4:
	s_delay_alu instid0(SALU_CYCLE_1)
	s_or_b32 exec_lo, exec_lo, s0
	v_dual_mov_b32 v0, v42 :: v_dual_mov_b32 v1, v43
	s_clause 0x19
	scratch_load_b32 v89, off, s33
	scratch_load_b32 v88, off, s33 offset:4
	scratch_load_b32 v79, off, s33 offset:8
	;; [unrolled: 1-line block ×25, first 2 shown]
	v_readlane_b32 s30, v90, 24
	v_readlane_b32 s31, v90, 25
	;; [unrolled: 1-line block ×26, first 2 shown]
	s_mov_b32 s32, s33
	v_readlane_b32 s0, v90, 26
	s_wait_xcnt 0x0
	s_or_saveexec_b32 s1, -1
	scratch_load_b32 v90, off, s33 offset:152 ; 4-byte Folded Reload
	s_wait_xcnt 0x0
	s_mov_b32 exec_lo, s1
	s_mov_b32 s33, s0
	s_wait_loadcnt_dscnt 0x0
	s_set_pc_i64 s[30:31]
.LBB3_5:
	flat_load_b32 v0, v[62:63]
	v_mov_b64_e32 v[42:43], 0
	s_mov_b32 s0, 0
	s_mov_b32 s20, 0
	s_mov_b32 s1, exec_lo
	s_wait_loadcnt_dscnt 0x0
	v_add_nc_u32_e32 v0, v0, v74
	s_wait_xcnt 0x0
	s_delay_alu instid0(VALU_DEP_1)
	v_cmpx_gt_i32_e32 0x2001, v0
	s_xor_b32 s1, exec_lo, s1
	s_cbranch_execz .LBB3_7
; %bb.6:
	v_dual_mov_b32 v75, 0 :: v_dual_ashrrev_i32 v1, 31, v0
	s_mov_b32 s20, exec_lo
	flat_store_b32 v[62:63], v0
	v_lshlrev_b64_e32 v[2:3], 2, v[74:75]
	v_lshl_add_u64 v[6:7], v[0:1], 2, v[62:63]
	s_delay_alu instid0(VALU_DEP_1) | instskip(NEXT) | instid1(VALU_DEP_1)
	v_sub_nc_u64_e32 v[2:3], v[6:7], v[2:3]
	v_add_nc_u64_e32 v[42:43], 4, v[2:3]
.LBB3_7:
	s_wait_xcnt 0x0
	s_and_not1_saveexec_b32 s21, s1
	s_cbranch_execz .LBB3_142
; %bb.8:
	s_load_b64 s[2:3], s[8:9], 0x50
	v_mbcnt_lo_u32_b32 v5, -1, 0
	v_mov_b64_e32 v[2:3], 0
	s_delay_alu instid0(VALU_DEP_2) | instskip(NEXT) | instid1(VALU_DEP_1)
	v_readfirstlane_b32 s0, v5
	v_cmp_eq_u32_e64 s0, s0, v5
	s_and_saveexec_b32 s1, s0
	s_cbranch_execz .LBB3_14
; %bb.9:
	v_mov_b32_e32 v0, 0
	s_mov_b32 s4, exec_lo
	s_wait_kmcnt 0x0
	global_load_b64 v[8:9], v0, s[2:3] offset:24 scope:SCOPE_SYS
	s_wait_loadcnt 0x0
	global_inv scope:SCOPE_SYS
	s_clause 0x1
	global_load_b64 v[2:3], v0, s[2:3] offset:40
	global_load_b64 v[6:7], v0, s[2:3]
	s_wait_loadcnt 0x1
	v_and_b32_e32 v2, v2, v8
	v_and_b32_e32 v3, v3, v9
	s_delay_alu instid0(VALU_DEP_1) | instskip(SKIP_1) | instid1(VALU_DEP_1)
	v_mul_u64_e32 v[2:3], 24, v[2:3]
	s_wait_loadcnt 0x0
	v_add_nc_u64_e32 v[2:3], v[6:7], v[2:3]
	global_load_b64 v[6:7], v[2:3], off scope:SCOPE_SYS
	s_wait_xcnt 0x0
	s_wait_loadcnt 0x0
	global_atomic_cmpswap_b64 v[2:3], v0, v[6:9], s[2:3] offset:24 th:TH_ATOMIC_RETURN scope:SCOPE_SYS
	s_wait_loadcnt 0x0
	global_inv scope:SCOPE_SYS
	s_wait_xcnt 0x0
	v_cmpx_ne_u64_e64 v[2:3], v[8:9]
	s_cbranch_execz .LBB3_13
; %bb.10:
	s_mov_b32 s5, 0
.LBB3_11:                               ; =>This Inner Loop Header: Depth=1
	s_sleep 1
	s_clause 0x1
	global_load_b64 v[6:7], v0, s[2:3] offset:40
	global_load_b64 v[10:11], v0, s[2:3]
	v_mov_b64_e32 v[8:9], v[2:3]
	s_wait_loadcnt 0x1
	s_delay_alu instid0(VALU_DEP_1) | instskip(SKIP_1) | instid1(VALU_DEP_1)
	v_and_b32_e32 v1, v6, v8
	s_wait_loadcnt 0x0
	v_mad_nc_u64_u32 v[2:3], v1, 24, v[10:11]
	s_delay_alu instid0(VALU_DEP_3) | instskip(NEXT) | instid1(VALU_DEP_1)
	v_and_b32_e32 v1, v7, v9
	v_mad_u32 v3, v1, 24, v3
	global_load_b64 v[6:7], v[2:3], off scope:SCOPE_SYS
	s_wait_xcnt 0x0
	s_wait_loadcnt 0x0
	global_atomic_cmpswap_b64 v[2:3], v0, v[6:9], s[2:3] offset:24 th:TH_ATOMIC_RETURN scope:SCOPE_SYS
	s_wait_loadcnt 0x0
	global_inv scope:SCOPE_SYS
	v_cmp_eq_u64_e32 vcc_lo, v[2:3], v[8:9]
	s_or_b32 s5, vcc_lo, s5
	s_wait_xcnt 0x0
	s_and_not1_b32 exec_lo, exec_lo, s5
	s_cbranch_execnz .LBB3_11
; %bb.12:
	s_or_b32 exec_lo, exec_lo, s5
.LBB3_13:
	s_delay_alu instid0(SALU_CYCLE_1)
	s_or_b32 exec_lo, exec_lo, s4
.LBB3_14:
	s_delay_alu instid0(SALU_CYCLE_1)
	s_or_b32 exec_lo, exec_lo, s1
	v_readfirstlane_b32 s4, v2
	v_mov_b32_e32 v1, 0
	v_readfirstlane_b32 s5, v3
	s_mov_b32 s1, exec_lo
	s_wait_kmcnt 0x0
	s_clause 0x1
	global_load_b64 v[10:11], v1, s[2:3] offset:40
	global_load_b128 v[6:9], v1, s[2:3]
	s_wait_loadcnt 0x1
	v_and_b32_e32 v12, s4, v10
	v_and_b32_e32 v13, s5, v11
	s_delay_alu instid0(VALU_DEP_1) | instskip(SKIP_1) | instid1(VALU_DEP_1)
	v_mul_u64_e32 v[2:3], 24, v[12:13]
	s_wait_loadcnt 0x0
	v_add_nc_u64_e32 v[10:11], v[6:7], v[2:3]
	s_wait_xcnt 0x0
	s_and_saveexec_b32 s6, s0
	s_cbranch_execz .LBB3_16
; %bb.15:
	v_mov_b64_e32 v[2:3], 0x100000002
	v_mov_b32_e32 v0, s1
	global_store_b128 v[10:11], v[0:3], off offset:8
.LBB3_16:
	s_wait_xcnt 0x0
	s_or_b32 exec_lo, exec_lo, s6
	v_lshlrev_b64_e32 v[2:3], 12, v[12:13]
	s_mov_b32 s12, 0
	v_dual_lshlrev_b32 v0, 6, v5 :: v_dual_mov_b32 v12, 33
	s_mov_b32 s14, s12
	s_mov_b32 s15, s12
	;; [unrolled: 1-line block ×3, first 2 shown]
	s_delay_alu instid0(VALU_DEP_2)
	v_add_nc_u64_e32 v[2:3], v[8:9], v[2:3]
	v_mov_b64_e32 v[18:19], s[14:15]
	v_mov_b64_e32 v[16:17], s[12:13]
	v_dual_mov_b32 v13, v1 :: v_dual_mov_b32 v14, v1
	v_mov_b32_e32 v15, v1
	v_readfirstlane_b32 s6, v2
	v_readfirstlane_b32 s7, v3
	s_clause 0x3
	global_store_b128 v0, v[12:15], s[6:7]
	global_store_b128 v0, v[16:19], s[6:7] offset:16
	global_store_b128 v0, v[16:19], s[6:7] offset:32
	;; [unrolled: 1-line block ×3, first 2 shown]
	s_wait_xcnt 0x0
	s_and_saveexec_b32 s1, s0
	s_cbranch_execz .LBB3_24
; %bb.17:
	v_dual_mov_b32 v14, 0 :: v_dual_mov_b32 v17, s5
	s_mov_b32 s6, exec_lo
	s_clause 0x1
	global_load_b64 v[18:19], v14, s[2:3] offset:32 scope:SCOPE_SYS
	global_load_b64 v[8:9], v14, s[2:3] offset:40
	s_wait_loadcnt 0x0
	v_dual_mov_b32 v16, s4 :: v_dual_bitop2_b32 v9, s5, v9 bitop3:0x40
	v_and_b32_e32 v8, s4, v8
	s_delay_alu instid0(VALU_DEP_1) | instskip(NEXT) | instid1(VALU_DEP_1)
	v_mul_u64_e32 v[8:9], 24, v[8:9]
	v_add_nc_u64_e32 v[12:13], v[6:7], v[8:9]
	global_store_b64 v[12:13], v[18:19], off
	global_wb scope:SCOPE_SYS
	s_wait_storecnt 0x0
	s_wait_xcnt 0x0
	global_atomic_cmpswap_b64 v[8:9], v14, v[16:19], s[2:3] offset:32 th:TH_ATOMIC_RETURN scope:SCOPE_SYS
	s_wait_loadcnt 0x0
	v_cmpx_ne_u64_e64 v[8:9], v[18:19]
	s_cbranch_execz .LBB3_20
; %bb.18:
	s_mov_b32 s7, 0
.LBB3_19:                               ; =>This Inner Loop Header: Depth=1
	v_dual_mov_b32 v6, s4 :: v_dual_mov_b32 v7, s5
	s_sleep 1
	global_store_b64 v[12:13], v[8:9], off
	global_wb scope:SCOPE_SYS
	s_wait_storecnt 0x0
	s_wait_xcnt 0x0
	global_atomic_cmpswap_b64 v[6:7], v14, v[6:9], s[2:3] offset:32 th:TH_ATOMIC_RETURN scope:SCOPE_SYS
	s_wait_loadcnt 0x0
	v_cmp_eq_u64_e32 vcc_lo, v[6:7], v[8:9]
	v_mov_b64_e32 v[8:9], v[6:7]
	s_or_b32 s7, vcc_lo, s7
	s_delay_alu instid0(SALU_CYCLE_1)
	s_and_not1_b32 exec_lo, exec_lo, s7
	s_cbranch_execnz .LBB3_19
.LBB3_20:
	s_or_b32 exec_lo, exec_lo, s6
	v_mov_b32_e32 v9, 0
	s_mov_b32 s7, exec_lo
	s_mov_b32 s6, exec_lo
	v_mbcnt_lo_u32_b32 v8, s7, 0
	global_load_b64 v[6:7], v9, s[2:3] offset:16
	s_wait_xcnt 0x0
	v_cmpx_eq_u32_e32 0, v8
	s_cbranch_execz .LBB3_22
; %bb.21:
	s_bcnt1_i32_b32 s7, s7
	s_delay_alu instid0(SALU_CYCLE_1)
	v_mov_b32_e32 v8, s7
	global_wb scope:SCOPE_SYS
	s_wait_loadcnt 0x0
	s_wait_storecnt 0x0
	global_atomic_add_u64 v[6:7], v[8:9], off offset:8 scope:SCOPE_SYS
.LBB3_22:
	s_wait_xcnt 0x0
	s_or_b32 exec_lo, exec_lo, s6
	s_wait_loadcnt 0x0
	global_load_b64 v[8:9], v[6:7], off offset:16
	s_wait_loadcnt 0x0
	v_cmp_eq_u64_e32 vcc_lo, 0, v[8:9]
	s_cbranch_vccnz .LBB3_24
; %bb.23:
	global_load_b32 v6, v[6:7], off offset:24
	s_wait_xcnt 0x0
	v_mov_b32_e32 v7, 0
	s_wait_loadcnt 0x0
	v_readfirstlane_b32 s6, v6
	global_wb scope:SCOPE_SYS
	s_wait_storecnt 0x0
	global_store_b64 v[8:9], v[6:7], off scope:SCOPE_SYS
	s_and_b32 m0, s6, 0xffffff
	s_sendmsg sendmsg(MSG_INTERRUPT)
.LBB3_24:
	s_wait_xcnt 0x0
	s_or_b32 exec_lo, exec_lo, s1
	v_add_nc_u64_e32 v[2:3], v[2:3], v[0:1]
	s_branch .LBB3_28
.LBB3_25:                               ;   in Loop: Header=BB3_28 Depth=1
	s_wait_xcnt 0x0
	s_or_b32 exec_lo, exec_lo, s1
	s_delay_alu instid0(VALU_DEP_1)
	v_readfirstlane_b32 s1, v1
	s_cmp_eq_u32 s1, 0
	s_cbranch_scc1 .LBB3_27
; %bb.26:                               ;   in Loop: Header=BB3_28 Depth=1
	s_sleep 1
	s_cbranch_execnz .LBB3_28
	s_branch .LBB3_30
.LBB3_27:
	s_branch .LBB3_30
.LBB3_28:                               ; =>This Inner Loop Header: Depth=1
	v_mov_b32_e32 v1, 1
	s_and_saveexec_b32 s1, s0
	s_cbranch_execz .LBB3_25
; %bb.29:                               ;   in Loop: Header=BB3_28 Depth=1
	global_load_b32 v1, v[10:11], off offset:20 scope:SCOPE_SYS
	s_wait_loadcnt 0x0
	global_inv scope:SCOPE_SYS
	v_and_b32_e32 v1, 1, v1
	s_branch .LBB3_25
.LBB3_30:
	global_load_b64 v[2:3], v[2:3], off
	s_wait_xcnt 0x0
	s_and_saveexec_b32 s6, s0
	s_cbranch_execz .LBB3_34
; %bb.31:
	v_mov_b32_e32 v1, 0
	s_clause 0x2
	global_load_b64 v[6:7], v1, s[2:3] offset:40
	global_load_b64 v[14:15], v1, s[2:3] offset:24 scope:SCOPE_SYS
	global_load_b64 v[8:9], v1, s[2:3]
	s_wait_loadcnt 0x2
	v_readfirstlane_b32 s10, v6
	v_readfirstlane_b32 s11, v7
	s_add_nc_u64 s[0:1], s[10:11], 1
	s_delay_alu instid0(SALU_CYCLE_1) | instskip(NEXT) | instid1(SALU_CYCLE_1)
	s_add_nc_u64 s[4:5], s[0:1], s[4:5]
	s_cmp_eq_u64 s[4:5], 0
	s_cselect_b32 s1, s1, s5
	s_cselect_b32 s0, s0, s4
	v_mov_b32_e32 v13, s1
	s_and_b64 s[4:5], s[0:1], s[10:11]
	v_mov_b32_e32 v12, s0
	s_mul_u64 s[4:5], s[4:5], 24
	s_wait_loadcnt 0x0
	v_add_nc_u64_e32 v[10:11], s[4:5], v[8:9]
	global_store_b64 v[10:11], v[14:15], off
	global_wb scope:SCOPE_SYS
	s_wait_storecnt 0x0
	s_wait_xcnt 0x0
	global_atomic_cmpswap_b64 v[8:9], v1, v[12:15], s[2:3] offset:24 th:TH_ATOMIC_RETURN scope:SCOPE_SYS
	s_wait_loadcnt 0x0
	v_cmp_ne_u64_e32 vcc_lo, v[8:9], v[14:15]
	s_and_b32 exec_lo, exec_lo, vcc_lo
	s_cbranch_execz .LBB3_34
; %bb.32:
	s_mov_b32 s4, 0
.LBB3_33:                               ; =>This Inner Loop Header: Depth=1
	v_dual_mov_b32 v6, s0 :: v_dual_mov_b32 v7, s1
	s_sleep 1
	global_store_b64 v[10:11], v[8:9], off
	global_wb scope:SCOPE_SYS
	s_wait_storecnt 0x0
	s_wait_xcnt 0x0
	global_atomic_cmpswap_b64 v[6:7], v1, v[6:9], s[2:3] offset:24 th:TH_ATOMIC_RETURN scope:SCOPE_SYS
	s_wait_loadcnt 0x0
	v_cmp_eq_u64_e32 vcc_lo, v[6:7], v[8:9]
	v_mov_b64_e32 v[8:9], v[6:7]
	s_or_b32 s4, vcc_lo, s4
	s_delay_alu instid0(SALU_CYCLE_1)
	s_and_not1_b32 exec_lo, exec_lo, s4
	s_cbranch_execnz .LBB3_33
.LBB3_34:
	s_or_b32 exec_lo, exec_lo, s6
	s_get_pc_i64 s[4:5]
	s_add_nc_u64 s[4:5], s[4:5], .str.28@rel64+4
	s_delay_alu instid0(SALU_CYCLE_1)
	s_cmp_lg_u64 s[4:5], 0
	s_cbranch_scc0 .LBB3_113
; %bb.35:
	v_mov_b64_e32 v[8:9], 0x100000002
	s_wait_loadcnt 0x0
	v_dual_mov_b32 v11, v3 :: v_dual_bitop2_b32 v10, -3, v2 bitop3:0x40
	v_mov_b32_e32 v7, 0
	s_mov_b64 s[6:7], 35
	s_branch .LBB3_37
.LBB3_36:                               ;   in Loop: Header=BB3_37 Depth=1
	s_or_b32 exec_lo, exec_lo, s14
	s_sub_nc_u64 s[6:7], s[6:7], s[10:11]
	s_add_nc_u64 s[4:5], s[4:5], s[10:11]
	s_cmp_lg_u64 s[6:7], 0
	s_cbranch_scc0 .LBB3_112
.LBB3_37:                               ; =>This Loop Header: Depth=1
                                        ;     Child Loop BB3_40 Depth 2
                                        ;     Child Loop BB3_47 Depth 2
	;; [unrolled: 1-line block ×11, first 2 shown]
	s_wait_loadcnt 0x0
	v_min_u64 v[12:13], s[6:7], 56
	v_cmp_gt_u64_e64 s0, s[6:7], 7
	s_and_b32 vcc_lo, exec_lo, s0
	v_readfirstlane_b32 s10, v12
	v_readfirstlane_b32 s11, v13
	s_cbranch_vccnz .LBB3_42
; %bb.38:                               ;   in Loop: Header=BB3_37 Depth=1
	v_mov_b64_e32 v[12:13], 0
	s_cmp_eq_u64 s[6:7], 0
	s_cbranch_scc1 .LBB3_41
; %bb.39:                               ;   in Loop: Header=BB3_37 Depth=1
	s_mov_b64 s[0:1], 0
	s_mov_b64 s[12:13], 0
.LBB3_40:                               ;   Parent Loop BB3_37 Depth=1
                                        ; =>  This Inner Loop Header: Depth=2
	s_wait_xcnt 0x0
	s_add_nc_u64 s[14:15], s[4:5], s[12:13]
	s_add_nc_u64 s[12:13], s[12:13], 1
	global_load_u8 v1, v7, s[14:15]
	s_cmp_lg_u32 s10, s12
	s_wait_loadcnt 0x0
	v_and_b32_e32 v6, 0xffff, v1
	s_delay_alu instid0(VALU_DEP_1) | instskip(SKIP_1) | instid1(VALU_DEP_1)
	v_lshlrev_b64_e32 v[14:15], s0, v[6:7]
	s_add_nc_u64 s[0:1], s[0:1], 8
	v_or_b32_e32 v12, v14, v12
	s_delay_alu instid0(VALU_DEP_2)
	v_or_b32_e32 v13, v15, v13
	s_cbranch_scc1 .LBB3_40
.LBB3_41:                               ;   in Loop: Header=BB3_37 Depth=1
	s_mov_b64 s[12:13], s[4:5]
	s_mov_b32 s16, 0
	s_cbranch_execz .LBB3_43
	s_branch .LBB3_44
.LBB3_42:                               ;   in Loop: Header=BB3_37 Depth=1
	s_add_nc_u64 s[12:13], s[4:5], 8
	s_mov_b32 s16, 0
.LBB3_43:                               ;   in Loop: Header=BB3_37 Depth=1
	global_load_b64 v[12:13], v7, s[4:5]
	s_add_co_i32 s16, s10, -8
.LBB3_44:                               ;   in Loop: Header=BB3_37 Depth=1
	s_delay_alu instid0(SALU_CYCLE_1)
	s_cmp_gt_u32 s16, 7
	s_cbranch_scc1 .LBB3_49
; %bb.45:                               ;   in Loop: Header=BB3_37 Depth=1
	v_mov_b64_e32 v[14:15], 0
	s_cmp_eq_u32 s16, 0
	s_cbranch_scc1 .LBB3_48
; %bb.46:                               ;   in Loop: Header=BB3_37 Depth=1
	s_mov_b64 s[0:1], 0
	s_wait_xcnt 0x0
	s_mov_b64 s[14:15], 0
.LBB3_47:                               ;   Parent Loop BB3_37 Depth=1
                                        ; =>  This Inner Loop Header: Depth=2
	s_wait_xcnt 0x0
	s_add_nc_u64 s[18:19], s[12:13], s[14:15]
	s_add_nc_u64 s[14:15], s[14:15], 1
	global_load_u8 v1, v7, s[18:19]
	s_cmp_lg_u32 s16, s14
	s_wait_loadcnt 0x0
	v_and_b32_e32 v6, 0xffff, v1
	s_delay_alu instid0(VALU_DEP_1) | instskip(SKIP_1) | instid1(VALU_DEP_1)
	v_lshlrev_b64_e32 v[16:17], s0, v[6:7]
	s_add_nc_u64 s[0:1], s[0:1], 8
	v_or_b32_e32 v14, v16, v14
	s_delay_alu instid0(VALU_DEP_2)
	v_or_b32_e32 v15, v17, v15
	s_cbranch_scc1 .LBB3_47
.LBB3_48:                               ;   in Loop: Header=BB3_37 Depth=1
	s_wait_xcnt 0x0
	s_mov_b64 s[0:1], s[12:13]
	s_mov_b32 s18, 0
	s_cbranch_execz .LBB3_50
	s_branch .LBB3_51
.LBB3_49:                               ;   in Loop: Header=BB3_37 Depth=1
	s_add_nc_u64 s[0:1], s[12:13], 8
	s_wait_xcnt 0x0
                                        ; implicit-def: $vgpr14_vgpr15
	s_mov_b32 s18, 0
.LBB3_50:                               ;   in Loop: Header=BB3_37 Depth=1
	global_load_b64 v[14:15], v7, s[12:13]
	s_add_co_i32 s18, s16, -8
.LBB3_51:                               ;   in Loop: Header=BB3_37 Depth=1
	s_delay_alu instid0(SALU_CYCLE_1)
	s_cmp_gt_u32 s18, 7
	s_cbranch_scc1 .LBB3_56
; %bb.52:                               ;   in Loop: Header=BB3_37 Depth=1
	v_mov_b64_e32 v[16:17], 0
	s_cmp_eq_u32 s18, 0
	s_cbranch_scc1 .LBB3_55
; %bb.53:                               ;   in Loop: Header=BB3_37 Depth=1
	s_wait_xcnt 0x0
	s_mov_b64 s[12:13], 0
	s_mov_b64 s[14:15], 0
.LBB3_54:                               ;   Parent Loop BB3_37 Depth=1
                                        ; =>  This Inner Loop Header: Depth=2
	s_wait_xcnt 0x0
	s_add_nc_u64 s[22:23], s[0:1], s[14:15]
	s_add_nc_u64 s[14:15], s[14:15], 1
	global_load_u8 v1, v7, s[22:23]
	s_cmp_lg_u32 s18, s14
	s_wait_loadcnt 0x0
	v_and_b32_e32 v6, 0xffff, v1
	s_delay_alu instid0(VALU_DEP_1) | instskip(SKIP_1) | instid1(VALU_DEP_1)
	v_lshlrev_b64_e32 v[18:19], s12, v[6:7]
	s_add_nc_u64 s[12:13], s[12:13], 8
	v_or_b32_e32 v16, v18, v16
	s_delay_alu instid0(VALU_DEP_2)
	v_or_b32_e32 v17, v19, v17
	s_cbranch_scc1 .LBB3_54
.LBB3_55:                               ;   in Loop: Header=BB3_37 Depth=1
	s_wait_xcnt 0x0
	s_mov_b64 s[12:13], s[0:1]
	s_mov_b32 s16, 0
	s_cbranch_execz .LBB3_57
	s_branch .LBB3_58
.LBB3_56:                               ;   in Loop: Header=BB3_37 Depth=1
	s_wait_xcnt 0x0
	s_add_nc_u64 s[12:13], s[0:1], 8
	s_mov_b32 s16, 0
.LBB3_57:                               ;   in Loop: Header=BB3_37 Depth=1
	global_load_b64 v[16:17], v7, s[0:1]
	s_add_co_i32 s16, s18, -8
.LBB3_58:                               ;   in Loop: Header=BB3_37 Depth=1
	s_delay_alu instid0(SALU_CYCLE_1)
	s_cmp_gt_u32 s16, 7
	s_cbranch_scc1 .LBB3_63
; %bb.59:                               ;   in Loop: Header=BB3_37 Depth=1
	v_mov_b64_e32 v[18:19], 0
	s_cmp_eq_u32 s16, 0
	s_cbranch_scc1 .LBB3_62
; %bb.60:                               ;   in Loop: Header=BB3_37 Depth=1
	s_wait_xcnt 0x0
	s_mov_b64 s[0:1], 0
	s_mov_b64 s[14:15], 0
.LBB3_61:                               ;   Parent Loop BB3_37 Depth=1
                                        ; =>  This Inner Loop Header: Depth=2
	s_wait_xcnt 0x0
	s_add_nc_u64 s[18:19], s[12:13], s[14:15]
	s_add_nc_u64 s[14:15], s[14:15], 1
	global_load_u8 v1, v7, s[18:19]
	s_cmp_lg_u32 s16, s14
	s_wait_loadcnt 0x0
	v_and_b32_e32 v6, 0xffff, v1
	s_delay_alu instid0(VALU_DEP_1) | instskip(SKIP_1) | instid1(VALU_DEP_1)
	v_lshlrev_b64_e32 v[20:21], s0, v[6:7]
	s_add_nc_u64 s[0:1], s[0:1], 8
	v_or_b32_e32 v18, v20, v18
	s_delay_alu instid0(VALU_DEP_2)
	v_or_b32_e32 v19, v21, v19
	s_cbranch_scc1 .LBB3_61
.LBB3_62:                               ;   in Loop: Header=BB3_37 Depth=1
	s_wait_xcnt 0x0
	s_mov_b64 s[0:1], s[12:13]
	s_mov_b32 s18, 0
	s_cbranch_execz .LBB3_64
	s_branch .LBB3_65
.LBB3_63:                               ;   in Loop: Header=BB3_37 Depth=1
	s_wait_xcnt 0x0
	s_add_nc_u64 s[0:1], s[12:13], 8
                                        ; implicit-def: $vgpr18_vgpr19
	s_mov_b32 s18, 0
.LBB3_64:                               ;   in Loop: Header=BB3_37 Depth=1
	global_load_b64 v[18:19], v7, s[12:13]
	s_add_co_i32 s18, s16, -8
.LBB3_65:                               ;   in Loop: Header=BB3_37 Depth=1
	s_delay_alu instid0(SALU_CYCLE_1)
	s_cmp_gt_u32 s18, 7
	s_cbranch_scc1 .LBB3_70
; %bb.66:                               ;   in Loop: Header=BB3_37 Depth=1
	v_mov_b64_e32 v[20:21], 0
	s_cmp_eq_u32 s18, 0
	s_cbranch_scc1 .LBB3_69
; %bb.67:                               ;   in Loop: Header=BB3_37 Depth=1
	s_wait_xcnt 0x0
	s_mov_b64 s[12:13], 0
	s_mov_b64 s[14:15], 0
.LBB3_68:                               ;   Parent Loop BB3_37 Depth=1
                                        ; =>  This Inner Loop Header: Depth=2
	s_wait_xcnt 0x0
	s_add_nc_u64 s[22:23], s[0:1], s[14:15]
	s_add_nc_u64 s[14:15], s[14:15], 1
	global_load_u8 v1, v7, s[22:23]
	s_cmp_lg_u32 s18, s14
	s_wait_loadcnt 0x0
	v_and_b32_e32 v6, 0xffff, v1
	s_delay_alu instid0(VALU_DEP_1) | instskip(SKIP_1) | instid1(VALU_DEP_1)
	v_lshlrev_b64_e32 v[22:23], s12, v[6:7]
	s_add_nc_u64 s[12:13], s[12:13], 8
	v_or_b32_e32 v20, v22, v20
	s_delay_alu instid0(VALU_DEP_2)
	v_or_b32_e32 v21, v23, v21
	s_cbranch_scc1 .LBB3_68
.LBB3_69:                               ;   in Loop: Header=BB3_37 Depth=1
	s_wait_xcnt 0x0
	s_mov_b64 s[12:13], s[0:1]
	s_mov_b32 s16, 0
	s_cbranch_execz .LBB3_71
	s_branch .LBB3_72
.LBB3_70:                               ;   in Loop: Header=BB3_37 Depth=1
	s_wait_xcnt 0x0
	s_add_nc_u64 s[12:13], s[0:1], 8
	s_mov_b32 s16, 0
.LBB3_71:                               ;   in Loop: Header=BB3_37 Depth=1
	global_load_b64 v[20:21], v7, s[0:1]
	s_add_co_i32 s16, s18, -8
.LBB3_72:                               ;   in Loop: Header=BB3_37 Depth=1
	s_delay_alu instid0(SALU_CYCLE_1)
	s_cmp_gt_u32 s16, 7
	s_cbranch_scc1 .LBB3_77
; %bb.73:                               ;   in Loop: Header=BB3_37 Depth=1
	v_mov_b64_e32 v[22:23], 0
	s_cmp_eq_u32 s16, 0
	s_cbranch_scc1 .LBB3_76
; %bb.74:                               ;   in Loop: Header=BB3_37 Depth=1
	s_wait_xcnt 0x0
	s_mov_b64 s[0:1], 0
	s_mov_b64 s[14:15], 0
.LBB3_75:                               ;   Parent Loop BB3_37 Depth=1
                                        ; =>  This Inner Loop Header: Depth=2
	s_wait_xcnt 0x0
	s_add_nc_u64 s[18:19], s[12:13], s[14:15]
	s_add_nc_u64 s[14:15], s[14:15], 1
	global_load_u8 v1, v7, s[18:19]
	s_cmp_lg_u32 s16, s14
	s_wait_loadcnt 0x0
	v_and_b32_e32 v6, 0xffff, v1
	s_delay_alu instid0(VALU_DEP_1) | instskip(SKIP_1) | instid1(VALU_DEP_1)
	v_lshlrev_b64_e32 v[24:25], s0, v[6:7]
	s_add_nc_u64 s[0:1], s[0:1], 8
	v_or_b32_e32 v22, v24, v22
	s_delay_alu instid0(VALU_DEP_2)
	v_or_b32_e32 v23, v25, v23
	s_cbranch_scc1 .LBB3_75
.LBB3_76:                               ;   in Loop: Header=BB3_37 Depth=1
	s_wait_xcnt 0x0
	s_mov_b64 s[0:1], s[12:13]
	s_mov_b32 s18, 0
	s_cbranch_execz .LBB3_78
	s_branch .LBB3_79
.LBB3_77:                               ;   in Loop: Header=BB3_37 Depth=1
	s_wait_xcnt 0x0
	s_add_nc_u64 s[0:1], s[12:13], 8
                                        ; implicit-def: $vgpr22_vgpr23
	s_mov_b32 s18, 0
.LBB3_78:                               ;   in Loop: Header=BB3_37 Depth=1
	global_load_b64 v[22:23], v7, s[12:13]
	s_add_co_i32 s18, s16, -8
.LBB3_79:                               ;   in Loop: Header=BB3_37 Depth=1
	s_delay_alu instid0(SALU_CYCLE_1)
	s_cmp_gt_u32 s18, 7
	s_cbranch_scc1 .LBB3_84
; %bb.80:                               ;   in Loop: Header=BB3_37 Depth=1
	v_mov_b64_e32 v[24:25], 0
	s_cmp_eq_u32 s18, 0
	s_cbranch_scc1 .LBB3_83
; %bb.81:                               ;   in Loop: Header=BB3_37 Depth=1
	s_wait_xcnt 0x0
	s_mov_b64 s[12:13], 0
	s_mov_b64 s[14:15], s[0:1]
.LBB3_82:                               ;   Parent Loop BB3_37 Depth=1
                                        ; =>  This Inner Loop Header: Depth=2
	global_load_u8 v1, v7, s[14:15]
	s_add_co_i32 s18, s18, -1
	s_wait_xcnt 0x0
	s_add_nc_u64 s[14:15], s[14:15], 1
	s_cmp_lg_u32 s18, 0
	s_wait_loadcnt 0x0
	v_and_b32_e32 v6, 0xffff, v1
	s_delay_alu instid0(VALU_DEP_1) | instskip(SKIP_1) | instid1(VALU_DEP_1)
	v_lshlrev_b64_e32 v[26:27], s12, v[6:7]
	s_add_nc_u64 s[12:13], s[12:13], 8
	v_or_b32_e32 v24, v26, v24
	s_delay_alu instid0(VALU_DEP_2)
	v_or_b32_e32 v25, v27, v25
	s_cbranch_scc1 .LBB3_82
.LBB3_83:                               ;   in Loop: Header=BB3_37 Depth=1
	s_wait_xcnt 0x0
	s_cbranch_execz .LBB3_85
	s_branch .LBB3_86
.LBB3_84:                               ;   in Loop: Header=BB3_37 Depth=1
	s_wait_xcnt 0x0
.LBB3_85:                               ;   in Loop: Header=BB3_37 Depth=1
	global_load_b64 v[24:25], v7, s[0:1]
.LBB3_86:                               ;   in Loop: Header=BB3_37 Depth=1
	s_wait_xcnt 0x0
	v_readfirstlane_b32 s0, v5
	v_mov_b64_e32 v[30:31], 0
	s_delay_alu instid0(VALU_DEP_2)
	v_cmp_eq_u32_e64 s0, s0, v5
	s_and_saveexec_b32 s1, s0
	s_cbranch_execz .LBB3_92
; %bb.87:                               ;   in Loop: Header=BB3_37 Depth=1
	global_load_b64 v[28:29], v7, s[2:3] offset:24 scope:SCOPE_SYS
	s_wait_loadcnt 0x0
	global_inv scope:SCOPE_SYS
	s_clause 0x1
	global_load_b64 v[26:27], v7, s[2:3] offset:40
	global_load_b64 v[30:31], v7, s[2:3]
	s_mov_b32 s12, exec_lo
	s_wait_loadcnt 0x1
	v_and_b32_e32 v26, v26, v28
	v_and_b32_e32 v27, v27, v29
	s_delay_alu instid0(VALU_DEP_1) | instskip(SKIP_1) | instid1(VALU_DEP_1)
	v_mul_u64_e32 v[26:27], 24, v[26:27]
	s_wait_loadcnt 0x0
	v_add_nc_u64_e32 v[26:27], v[30:31], v[26:27]
	global_load_b64 v[26:27], v[26:27], off scope:SCOPE_SYS
	s_wait_xcnt 0x0
	s_wait_loadcnt 0x0
	global_atomic_cmpswap_b64 v[30:31], v7, v[26:29], s[2:3] offset:24 th:TH_ATOMIC_RETURN scope:SCOPE_SYS
	s_wait_loadcnt 0x0
	global_inv scope:SCOPE_SYS
	s_wait_xcnt 0x0
	v_cmpx_ne_u64_e64 v[30:31], v[28:29]
	s_cbranch_execz .LBB3_91
; %bb.88:                               ;   in Loop: Header=BB3_37 Depth=1
	s_mov_b32 s13, 0
.LBB3_89:                               ;   Parent Loop BB3_37 Depth=1
                                        ; =>  This Inner Loop Header: Depth=2
	s_sleep 1
	s_clause 0x1
	global_load_b64 v[26:27], v7, s[2:3] offset:40
	global_load_b64 v[32:33], v7, s[2:3]
	v_mov_b64_e32 v[28:29], v[30:31]
	s_wait_loadcnt 0x1
	s_delay_alu instid0(VALU_DEP_1) | instskip(SKIP_1) | instid1(VALU_DEP_1)
	v_and_b32_e32 v1, v26, v28
	s_wait_loadcnt 0x0
	v_mad_nc_u64_u32 v[30:31], v1, 24, v[32:33]
	s_delay_alu instid0(VALU_DEP_3) | instskip(NEXT) | instid1(VALU_DEP_1)
	v_and_b32_e32 v1, v27, v29
	v_mad_u32 v31, v1, 24, v31
	global_load_b64 v[26:27], v[30:31], off scope:SCOPE_SYS
	s_wait_xcnt 0x0
	s_wait_loadcnt 0x0
	global_atomic_cmpswap_b64 v[30:31], v7, v[26:29], s[2:3] offset:24 th:TH_ATOMIC_RETURN scope:SCOPE_SYS
	s_wait_loadcnt 0x0
	global_inv scope:SCOPE_SYS
	v_cmp_eq_u64_e32 vcc_lo, v[30:31], v[28:29]
	s_or_b32 s13, vcc_lo, s13
	s_wait_xcnt 0x0
	s_and_not1_b32 exec_lo, exec_lo, s13
	s_cbranch_execnz .LBB3_89
; %bb.90:                               ;   in Loop: Header=BB3_37 Depth=1
	s_or_b32 exec_lo, exec_lo, s13
.LBB3_91:                               ;   in Loop: Header=BB3_37 Depth=1
	s_delay_alu instid0(SALU_CYCLE_1)
	s_or_b32 exec_lo, exec_lo, s12
.LBB3_92:                               ;   in Loop: Header=BB3_37 Depth=1
	s_delay_alu instid0(SALU_CYCLE_1)
	s_or_b32 exec_lo, exec_lo, s1
	s_clause 0x1
	global_load_b64 v[32:33], v7, s[2:3] offset:40
	global_load_b128 v[26:29], v7, s[2:3]
	v_readfirstlane_b32 s12, v30
	v_readfirstlane_b32 s13, v31
	s_mov_b32 s1, exec_lo
	s_wait_loadcnt 0x1
	v_and_b32_e32 v32, s12, v32
	v_and_b32_e32 v33, s13, v33
	s_delay_alu instid0(VALU_DEP_1) | instskip(SKIP_1) | instid1(VALU_DEP_1)
	v_mul_u64_e32 v[30:31], 24, v[32:33]
	s_wait_loadcnt 0x0
	v_add_nc_u64_e32 v[30:31], v[26:27], v[30:31]
	s_wait_xcnt 0x0
	s_and_saveexec_b32 s14, s0
	s_cbranch_execz .LBB3_94
; %bb.93:                               ;   in Loop: Header=BB3_37 Depth=1
	v_mov_b32_e32 v6, s1
	global_store_b128 v[30:31], v[6:9], off offset:8
.LBB3_94:                               ;   in Loop: Header=BB3_37 Depth=1
	s_wait_xcnt 0x0
	s_or_b32 exec_lo, exec_lo, s14
	v_cmp_gt_u64_e64 s1, s[6:7], 56
	v_lshlrev_b64_e32 v[32:33], 12, v[32:33]
	v_and_b32_e32 v1, 0xffffff1f, v10
	s_and_b32 s1, s1, exec_lo
	s_delay_alu instid0(VALU_DEP_2) | instskip(SKIP_4) | instid1(VALU_DEP_2)
	v_add_nc_u64_e32 v[28:29], v[28:29], v[32:33]
	s_cselect_b32 s1, 0, 2
	s_lshl_b32 s14, s10, 2
	v_or_b32_e32 v1, s1, v1
	s_add_co_i32 s1, s14, 28
	v_readfirstlane_b32 s14, v28
	s_delay_alu instid0(VALU_DEP_3) | instskip(NEXT) | instid1(VALU_DEP_3)
	v_readfirstlane_b32 s15, v29
	v_and_or_b32 v10, 0x1e0, s1, v1
	s_clause 0x3
	global_store_b128 v0, v[10:13], s[14:15]
	global_store_b128 v0, v[14:17], s[14:15] offset:16
	global_store_b128 v0, v[18:21], s[14:15] offset:32
	;; [unrolled: 1-line block ×3, first 2 shown]
	s_wait_xcnt 0x0
	s_and_saveexec_b32 s1, s0
	s_cbranch_execz .LBB3_102
; %bb.95:                               ;   in Loop: Header=BB3_37 Depth=1
	s_clause 0x1
	global_load_b64 v[18:19], v7, s[2:3] offset:32 scope:SCOPE_SYS
	global_load_b64 v[10:11], v7, s[2:3] offset:40
	s_mov_b32 s14, exec_lo
	v_dual_mov_b32 v16, s12 :: v_dual_mov_b32 v17, s13
	s_wait_loadcnt 0x0
	v_and_b32_e32 v11, s13, v11
	v_and_b32_e32 v10, s12, v10
	s_delay_alu instid0(VALU_DEP_1) | instskip(NEXT) | instid1(VALU_DEP_1)
	v_mul_u64_e32 v[10:11], 24, v[10:11]
	v_add_nc_u64_e32 v[14:15], v[26:27], v[10:11]
	global_store_b64 v[14:15], v[18:19], off
	global_wb scope:SCOPE_SYS
	s_wait_storecnt 0x0
	s_wait_xcnt 0x0
	global_atomic_cmpswap_b64 v[12:13], v7, v[16:19], s[2:3] offset:32 th:TH_ATOMIC_RETURN scope:SCOPE_SYS
	s_wait_loadcnt 0x0
	v_cmpx_ne_u64_e64 v[12:13], v[18:19]
	s_cbranch_execz .LBB3_98
; %bb.96:                               ;   in Loop: Header=BB3_37 Depth=1
	s_mov_b32 s15, 0
.LBB3_97:                               ;   Parent Loop BB3_37 Depth=1
                                        ; =>  This Inner Loop Header: Depth=2
	v_dual_mov_b32 v10, s12 :: v_dual_mov_b32 v11, s13
	s_sleep 1
	global_store_b64 v[14:15], v[12:13], off
	global_wb scope:SCOPE_SYS
	s_wait_storecnt 0x0
	s_wait_xcnt 0x0
	global_atomic_cmpswap_b64 v[10:11], v7, v[10:13], s[2:3] offset:32 th:TH_ATOMIC_RETURN scope:SCOPE_SYS
	s_wait_loadcnt 0x0
	v_cmp_eq_u64_e32 vcc_lo, v[10:11], v[12:13]
	v_mov_b64_e32 v[12:13], v[10:11]
	s_or_b32 s15, vcc_lo, s15
	s_delay_alu instid0(SALU_CYCLE_1)
	s_and_not1_b32 exec_lo, exec_lo, s15
	s_cbranch_execnz .LBB3_97
.LBB3_98:                               ;   in Loop: Header=BB3_37 Depth=1
	s_or_b32 exec_lo, exec_lo, s14
	global_load_b64 v[10:11], v7, s[2:3] offset:16
	s_mov_b32 s15, exec_lo
	s_mov_b32 s14, exec_lo
	v_mbcnt_lo_u32_b32 v1, s15, 0
	s_wait_xcnt 0x0
	s_delay_alu instid0(VALU_DEP_1)
	v_cmpx_eq_u32_e32 0, v1
	s_cbranch_execz .LBB3_100
; %bb.99:                               ;   in Loop: Header=BB3_37 Depth=1
	s_bcnt1_i32_b32 s15, s15
	s_delay_alu instid0(SALU_CYCLE_1)
	v_mov_b32_e32 v6, s15
	global_wb scope:SCOPE_SYS
	s_wait_loadcnt 0x0
	s_wait_storecnt 0x0
	global_atomic_add_u64 v[10:11], v[6:7], off offset:8 scope:SCOPE_SYS
.LBB3_100:                              ;   in Loop: Header=BB3_37 Depth=1
	s_wait_xcnt 0x0
	s_or_b32 exec_lo, exec_lo, s14
	s_wait_loadcnt 0x0
	global_load_b64 v[12:13], v[10:11], off offset:16
	s_wait_loadcnt 0x0
	v_cmp_eq_u64_e32 vcc_lo, 0, v[12:13]
	s_cbranch_vccnz .LBB3_102
; %bb.101:                              ;   in Loop: Header=BB3_37 Depth=1
	global_load_b32 v6, v[10:11], off offset:24
	s_wait_loadcnt 0x0
	v_readfirstlane_b32 s14, v6
	global_wb scope:SCOPE_SYS
	s_wait_storecnt 0x0
	s_wait_xcnt 0x0
	global_store_b64 v[12:13], v[6:7], off scope:SCOPE_SYS
	s_and_b32 m0, s14, 0xffffff
	s_sendmsg sendmsg(MSG_INTERRUPT)
.LBB3_102:                              ;   in Loop: Header=BB3_37 Depth=1
	s_wait_xcnt 0x0
	s_or_b32 exec_lo, exec_lo, s1
	v_mov_b32_e32 v1, v7
	s_delay_alu instid0(VALU_DEP_1)
	v_add_nc_u64_e32 v[10:11], v[28:29], v[0:1]
	s_branch .LBB3_106
.LBB3_103:                              ;   in Loop: Header=BB3_106 Depth=2
	s_wait_xcnt 0x0
	s_or_b32 exec_lo, exec_lo, s1
	s_delay_alu instid0(VALU_DEP_1)
	v_readfirstlane_b32 s1, v1
	s_cmp_eq_u32 s1, 0
	s_cbranch_scc1 .LBB3_105
; %bb.104:                              ;   in Loop: Header=BB3_106 Depth=2
	s_sleep 1
	s_cbranch_execnz .LBB3_106
	s_branch .LBB3_108
.LBB3_105:                              ;   in Loop: Header=BB3_37 Depth=1
	s_branch .LBB3_108
.LBB3_106:                              ;   Parent Loop BB3_37 Depth=1
                                        ; =>  This Inner Loop Header: Depth=2
	v_mov_b32_e32 v1, 1
	s_and_saveexec_b32 s1, s0
	s_cbranch_execz .LBB3_103
; %bb.107:                              ;   in Loop: Header=BB3_106 Depth=2
	global_load_b32 v1, v[30:31], off offset:20 scope:SCOPE_SYS
	s_wait_loadcnt 0x0
	global_inv scope:SCOPE_SYS
	v_and_b32_e32 v1, 1, v1
	s_branch .LBB3_103
.LBB3_108:                              ;   in Loop: Header=BB3_37 Depth=1
	global_load_b128 v[10:13], v[10:11], off
	s_wait_xcnt 0x0
	s_and_saveexec_b32 s14, s0
	s_cbranch_execz .LBB3_36
; %bb.109:                              ;   in Loop: Header=BB3_37 Depth=1
	s_wait_loadcnt 0x0
	s_clause 0x2
	global_load_b64 v[12:13], v7, s[2:3] offset:40
	global_load_b64 v[20:21], v7, s[2:3] offset:24 scope:SCOPE_SYS
	global_load_b64 v[14:15], v7, s[2:3]
	s_wait_loadcnt 0x2
	v_readfirstlane_b32 s18, v12
	v_readfirstlane_b32 s19, v13
	s_add_nc_u64 s[0:1], s[18:19], 1
	s_delay_alu instid0(SALU_CYCLE_1) | instskip(NEXT) | instid1(SALU_CYCLE_1)
	s_add_nc_u64 s[12:13], s[0:1], s[12:13]
	s_cmp_eq_u64 s[12:13], 0
	s_cselect_b32 s1, s1, s13
	s_cselect_b32 s0, s0, s12
	s_delay_alu instid0(SALU_CYCLE_1) | instskip(SKIP_1) | instid1(SALU_CYCLE_1)
	v_dual_mov_b32 v19, s1 :: v_dual_mov_b32 v18, s0
	s_and_b64 s[12:13], s[0:1], s[18:19]
	s_mul_u64 s[12:13], s[12:13], 24
	s_wait_loadcnt 0x0
	v_add_nc_u64_e32 v[16:17], s[12:13], v[14:15]
	global_store_b64 v[16:17], v[20:21], off
	global_wb scope:SCOPE_SYS
	s_wait_storecnt 0x0
	s_wait_xcnt 0x0
	global_atomic_cmpswap_b64 v[14:15], v7, v[18:21], s[2:3] offset:24 th:TH_ATOMIC_RETURN scope:SCOPE_SYS
	s_wait_loadcnt 0x0
	v_cmp_ne_u64_e32 vcc_lo, v[14:15], v[20:21]
	s_and_b32 exec_lo, exec_lo, vcc_lo
	s_cbranch_execz .LBB3_36
; %bb.110:                              ;   in Loop: Header=BB3_37 Depth=1
	s_mov_b32 s12, 0
.LBB3_111:                              ;   Parent Loop BB3_37 Depth=1
                                        ; =>  This Inner Loop Header: Depth=2
	v_dual_mov_b32 v12, s0 :: v_dual_mov_b32 v13, s1
	s_sleep 1
	global_store_b64 v[16:17], v[14:15], off
	global_wb scope:SCOPE_SYS
	s_wait_storecnt 0x0
	s_wait_xcnt 0x0
	global_atomic_cmpswap_b64 v[12:13], v7, v[12:15], s[2:3] offset:24 th:TH_ATOMIC_RETURN scope:SCOPE_SYS
	s_wait_loadcnt 0x0
	v_cmp_eq_u64_e32 vcc_lo, v[12:13], v[14:15]
	v_mov_b64_e32 v[14:15], v[12:13]
	s_or_b32 s12, vcc_lo, s12
	s_delay_alu instid0(SALU_CYCLE_1)
	s_and_not1_b32 exec_lo, exec_lo, s12
	s_cbranch_execnz .LBB3_111
	s_branch .LBB3_36
.LBB3_112:
	v_mov_b32_e32 v55, v4
	s_branch .LBB3_141
.LBB3_113:
	v_mov_b32_e32 v55, v4
	s_cbranch_execz .LBB3_141
; %bb.114:
	v_readfirstlane_b32 s0, v5
	s_wait_loadcnt 0x0
	v_mov_b64_e32 v[10:11], 0
	s_delay_alu instid0(VALU_DEP_2)
	v_cmp_eq_u32_e64 s0, s0, v5
	s_and_saveexec_b32 s1, s0
	s_cbranch_execz .LBB3_120
; %bb.115:
	v_mov_b32_e32 v1, 0
	s_mov_b32 s4, exec_lo
	global_load_b64 v[6:7], v1, s[2:3] offset:24 scope:SCOPE_SYS
	s_wait_loadcnt 0x0
	global_inv scope:SCOPE_SYS
	s_clause 0x1
	global_load_b64 v[4:5], v1, s[2:3] offset:40
	global_load_b64 v[8:9], v1, s[2:3]
	s_wait_loadcnt 0x1
	v_and_b32_e32 v4, v4, v6
	v_and_b32_e32 v5, v5, v7
	s_delay_alu instid0(VALU_DEP_1) | instskip(SKIP_1) | instid1(VALU_DEP_1)
	v_mul_u64_e32 v[4:5], 24, v[4:5]
	s_wait_loadcnt 0x0
	v_add_nc_u64_e32 v[4:5], v[8:9], v[4:5]
	global_load_b64 v[4:5], v[4:5], off scope:SCOPE_SYS
	s_wait_xcnt 0x0
	s_wait_loadcnt 0x0
	global_atomic_cmpswap_b64 v[10:11], v1, v[4:7], s[2:3] offset:24 th:TH_ATOMIC_RETURN scope:SCOPE_SYS
	s_wait_loadcnt 0x0
	global_inv scope:SCOPE_SYS
	s_wait_xcnt 0x0
	v_cmpx_ne_u64_e64 v[10:11], v[6:7]
	s_cbranch_execz .LBB3_119
; %bb.116:
	s_mov_b32 s5, 0
.LBB3_117:                              ; =>This Inner Loop Header: Depth=1
	s_sleep 1
	s_clause 0x1
	global_load_b64 v[4:5], v1, s[2:3] offset:40
	global_load_b64 v[8:9], v1, s[2:3]
	v_mov_b64_e32 v[6:7], v[10:11]
	s_wait_loadcnt 0x1
	s_delay_alu instid0(VALU_DEP_1) | instskip(SKIP_1) | instid1(VALU_DEP_1)
	v_and_b32_e32 v4, v4, v6
	s_wait_loadcnt 0x0
	v_mad_nc_u64_u32 v[8:9], v4, 24, v[8:9]
	s_delay_alu instid0(VALU_DEP_3) | instskip(NEXT) | instid1(VALU_DEP_1)
	v_and_b32_e32 v4, v5, v7
	v_mad_u32 v9, v4, 24, v9
	global_load_b64 v[4:5], v[8:9], off scope:SCOPE_SYS
	s_wait_xcnt 0x0
	s_wait_loadcnt 0x0
	global_atomic_cmpswap_b64 v[10:11], v1, v[4:7], s[2:3] offset:24 th:TH_ATOMIC_RETURN scope:SCOPE_SYS
	s_wait_loadcnt 0x0
	global_inv scope:SCOPE_SYS
	v_cmp_eq_u64_e32 vcc_lo, v[10:11], v[6:7]
	s_or_b32 s5, vcc_lo, s5
	s_wait_xcnt 0x0
	s_and_not1_b32 exec_lo, exec_lo, s5
	s_cbranch_execnz .LBB3_117
; %bb.118:
	s_or_b32 exec_lo, exec_lo, s5
.LBB3_119:
	s_delay_alu instid0(SALU_CYCLE_1)
	s_or_b32 exec_lo, exec_lo, s4
.LBB3_120:
	s_delay_alu instid0(SALU_CYCLE_1)
	s_or_b32 exec_lo, exec_lo, s1
	v_readfirstlane_b32 s4, v10
	v_mov_b32_e32 v4, 0
	v_readfirstlane_b32 s5, v11
	s_mov_b32 s1, exec_lo
	s_clause 0x1
	global_load_b64 v[12:13], v4, s[2:3] offset:40
	global_load_b128 v[6:9], v4, s[2:3]
	s_wait_loadcnt 0x1
	v_and_b32_e32 v12, s4, v12
	v_and_b32_e32 v13, s5, v13
	s_delay_alu instid0(VALU_DEP_1) | instskip(SKIP_1) | instid1(VALU_DEP_1)
	v_mul_u64_e32 v[10:11], 24, v[12:13]
	s_wait_loadcnt 0x0
	v_add_nc_u64_e32 v[10:11], v[6:7], v[10:11]
	s_wait_xcnt 0x0
	s_and_saveexec_b32 s6, s0
	s_cbranch_execz .LBB3_122
; %bb.121:
	v_mov_b64_e32 v[16:17], 0x100000002
	v_dual_mov_b32 v14, s1 :: v_dual_mov_b32 v15, v4
	global_store_b128 v[10:11], v[14:17], off offset:8
.LBB3_122:
	s_wait_xcnt 0x0
	s_or_b32 exec_lo, exec_lo, s6
	v_lshlrev_b64_e32 v[12:13], 12, v[12:13]
	s_mov_b32 s12, 0
	v_and_or_b32 v2, 0xffffff1d, v2, 34
	s_mov_b32 s13, s12
	s_mov_b32 s14, s12
	s_mov_b32 s15, s12
	v_mov_b32_e32 v5, v4
	v_add_nc_u64_e32 v[8:9], v[8:9], v[12:13]
	v_mov_b64_e32 v[12:13], s[12:13]
	v_mov_b64_e32 v[14:15], s[14:15]
	s_delay_alu instid0(VALU_DEP_3) | instskip(NEXT) | instid1(VALU_DEP_4)
	v_readfirstlane_b32 s6, v8
	v_readfirstlane_b32 s7, v9
	s_clause 0x3
	global_store_b128 v0, v[2:5], s[6:7]
	global_store_b128 v0, v[12:15], s[6:7] offset:16
	global_store_b128 v0, v[12:15], s[6:7] offset:32
	global_store_b128 v0, v[12:15], s[6:7] offset:48
	s_wait_xcnt 0x0
	s_and_saveexec_b32 s1, s0
	s_cbranch_execz .LBB3_130
; %bb.123:
	v_dual_mov_b32 v8, 0 :: v_dual_mov_b32 v13, s5
	s_mov_b32 s6, exec_lo
	s_clause 0x1
	global_load_b64 v[14:15], v8, s[2:3] offset:32 scope:SCOPE_SYS
	global_load_b64 v[0:1], v8, s[2:3] offset:40
	s_wait_loadcnt 0x0
	v_dual_mov_b32 v12, s4 :: v_dual_bitop2_b32 v1, s5, v1 bitop3:0x40
	v_and_b32_e32 v0, s4, v0
	s_delay_alu instid0(VALU_DEP_1) | instskip(NEXT) | instid1(VALU_DEP_1)
	v_mul_u64_e32 v[0:1], 24, v[0:1]
	v_add_nc_u64_e32 v[4:5], v[6:7], v[0:1]
	global_store_b64 v[4:5], v[14:15], off
	global_wb scope:SCOPE_SYS
	s_wait_storecnt 0x0
	s_wait_xcnt 0x0
	global_atomic_cmpswap_b64 v[2:3], v8, v[12:15], s[2:3] offset:32 th:TH_ATOMIC_RETURN scope:SCOPE_SYS
	s_wait_loadcnt 0x0
	v_cmpx_ne_u64_e64 v[2:3], v[14:15]
	s_cbranch_execz .LBB3_126
; %bb.124:
	s_mov_b32 s7, 0
.LBB3_125:                              ; =>This Inner Loop Header: Depth=1
	v_dual_mov_b32 v0, s4 :: v_dual_mov_b32 v1, s5
	s_sleep 1
	global_store_b64 v[4:5], v[2:3], off
	global_wb scope:SCOPE_SYS
	s_wait_storecnt 0x0
	s_wait_xcnt 0x0
	global_atomic_cmpswap_b64 v[0:1], v8, v[0:3], s[2:3] offset:32 th:TH_ATOMIC_RETURN scope:SCOPE_SYS
	s_wait_loadcnt 0x0
	v_cmp_eq_u64_e32 vcc_lo, v[0:1], v[2:3]
	v_mov_b64_e32 v[2:3], v[0:1]
	s_or_b32 s7, vcc_lo, s7
	s_delay_alu instid0(SALU_CYCLE_1)
	s_and_not1_b32 exec_lo, exec_lo, s7
	s_cbranch_execnz .LBB3_125
.LBB3_126:
	s_or_b32 exec_lo, exec_lo, s6
	v_mov_b32_e32 v3, 0
	s_mov_b32 s7, exec_lo
	s_mov_b32 s6, exec_lo
	v_mbcnt_lo_u32_b32 v2, s7, 0
	global_load_b64 v[0:1], v3, s[2:3] offset:16
	s_wait_xcnt 0x0
	v_cmpx_eq_u32_e32 0, v2
	s_cbranch_execz .LBB3_128
; %bb.127:
	s_bcnt1_i32_b32 s7, s7
	s_delay_alu instid0(SALU_CYCLE_1)
	v_mov_b32_e32 v2, s7
	global_wb scope:SCOPE_SYS
	s_wait_loadcnt 0x0
	s_wait_storecnt 0x0
	global_atomic_add_u64 v[0:1], v[2:3], off offset:8 scope:SCOPE_SYS
.LBB3_128:
	s_wait_xcnt 0x0
	s_or_b32 exec_lo, exec_lo, s6
	s_wait_loadcnt 0x0
	global_load_b64 v[2:3], v[0:1], off offset:16
	s_wait_loadcnt 0x0
	v_cmp_eq_u64_e32 vcc_lo, 0, v[2:3]
	s_cbranch_vccnz .LBB3_130
; %bb.129:
	global_load_b32 v0, v[0:1], off offset:24
	s_wait_xcnt 0x0
	v_mov_b32_e32 v1, 0
	s_wait_loadcnt 0x0
	v_readfirstlane_b32 s6, v0
	global_wb scope:SCOPE_SYS
	s_wait_storecnt 0x0
	global_store_b64 v[2:3], v[0:1], off scope:SCOPE_SYS
	s_and_b32 m0, s6, 0xffffff
	s_sendmsg sendmsg(MSG_INTERRUPT)
.LBB3_130:
	s_wait_xcnt 0x0
	s_or_b32 exec_lo, exec_lo, s1
	s_branch .LBB3_134
.LBB3_131:                              ;   in Loop: Header=BB3_134 Depth=1
	s_wait_xcnt 0x0
	s_or_b32 exec_lo, exec_lo, s1
	s_delay_alu instid0(VALU_DEP_1)
	v_readfirstlane_b32 s1, v0
	s_cmp_eq_u32 s1, 0
	s_cbranch_scc1 .LBB3_133
; %bb.132:                              ;   in Loop: Header=BB3_134 Depth=1
	s_sleep 1
	s_cbranch_execnz .LBB3_134
	s_branch .LBB3_136
.LBB3_133:
	s_branch .LBB3_136
.LBB3_134:                              ; =>This Inner Loop Header: Depth=1
	v_mov_b32_e32 v0, 1
	s_and_saveexec_b32 s1, s0
	s_cbranch_execz .LBB3_131
; %bb.135:                              ;   in Loop: Header=BB3_134 Depth=1
	global_load_b32 v0, v[10:11], off offset:20 scope:SCOPE_SYS
	s_wait_loadcnt 0x0
	global_inv scope:SCOPE_SYS
	v_and_b32_e32 v0, 1, v0
	s_branch .LBB3_131
.LBB3_136:
	s_and_saveexec_b32 s6, s0
	s_cbranch_execz .LBB3_140
; %bb.137:
	v_mov_b32_e32 v6, 0
	s_clause 0x2
	global_load_b64 v[0:1], v6, s[2:3] offset:40
	global_load_b64 v[10:11], v6, s[2:3] offset:24 scope:SCOPE_SYS
	global_load_b64 v[2:3], v6, s[2:3]
	s_wait_loadcnt 0x2
	v_readfirstlane_b32 s10, v0
	v_readfirstlane_b32 s11, v1
	s_add_nc_u64 s[0:1], s[10:11], 1
	s_delay_alu instid0(SALU_CYCLE_1) | instskip(NEXT) | instid1(SALU_CYCLE_1)
	s_add_nc_u64 s[4:5], s[0:1], s[4:5]
	s_cmp_eq_u64 s[4:5], 0
	s_cselect_b32 s1, s1, s5
	s_cselect_b32 s0, s0, s4
	v_mov_b32_e32 v9, s1
	s_and_b64 s[4:5], s[0:1], s[10:11]
	v_mov_b32_e32 v8, s0
	s_mul_u64 s[4:5], s[4:5], 24
	s_wait_loadcnt 0x0
	v_add_nc_u64_e32 v[4:5], s[4:5], v[2:3]
	global_store_b64 v[4:5], v[10:11], off
	global_wb scope:SCOPE_SYS
	s_wait_storecnt 0x0
	s_wait_xcnt 0x0
	global_atomic_cmpswap_b64 v[2:3], v6, v[8:11], s[2:3] offset:24 th:TH_ATOMIC_RETURN scope:SCOPE_SYS
	s_wait_loadcnt 0x0
	v_cmp_ne_u64_e32 vcc_lo, v[2:3], v[10:11]
	s_and_b32 exec_lo, exec_lo, vcc_lo
	s_cbranch_execz .LBB3_140
; %bb.138:
	s_mov_b32 s4, 0
.LBB3_139:                              ; =>This Inner Loop Header: Depth=1
	v_dual_mov_b32 v0, s0 :: v_dual_mov_b32 v1, s1
	s_sleep 1
	global_store_b64 v[4:5], v[2:3], off
	global_wb scope:SCOPE_SYS
	s_wait_storecnt 0x0
	s_wait_xcnt 0x0
	global_atomic_cmpswap_b64 v[0:1], v6, v[0:3], s[2:3] offset:24 th:TH_ATOMIC_RETURN scope:SCOPE_SYS
	s_wait_loadcnt 0x0
	v_cmp_eq_u64_e32 vcc_lo, v[0:1], v[2:3]
	v_mov_b64_e32 v[2:3], v[0:1]
	s_or_b32 s4, vcc_lo, s4
	s_delay_alu instid0(SALU_CYCLE_1)
	s_and_not1_b32 exec_lo, exec_lo, s4
	s_cbranch_execnz .LBB3_139
.LBB3_140:
	s_or_b32 exec_lo, exec_lo, s6
.LBB3_141:
	s_get_pc_i64 s[0:1]
	s_add_nc_u64 s[0:1], s[0:1], .str.29@rel64+4
	s_get_pc_i64 s[2:3]
	s_add_nc_u64 s[2:3], s[2:3], .str.19@rel64+4
	s_get_pc_i64 s[4:5]
	s_add_nc_u64 s[4:5], s[4:5], __PRETTY_FUNCTION__._ZN7VecsMemIjLi8192EE5fetchEi@rel64+4
	v_dual_mov_b32 v0, s0 :: v_dual_mov_b32 v1, s1
	s_wait_loadcnt 0x0
	v_dual_mov_b32 v2, s2 :: v_dual_mov_b32 v3, s3
	v_dual_mov_b32 v4, 12 :: v_dual_mov_b32 v5, s4
	v_mov_b32_e32 v6, s5
	s_get_pc_i64 s[6:7]
	s_add_nc_u64 s[6:7], s[6:7], __assert_fail@rel64+4
	s_mov_b64 s[18:19], s[8:9]
	s_swap_pc_i64 s[30:31], s[6:7]
	v_mov_b32_e32 v4, v55
	s_mov_b64 s[8:9], s[18:19]
	s_mov_b32 s0, exec_lo
.LBB3_142:
	s_or_b32 exec_lo, exec_lo, s21
	s_delay_alu instid0(SALU_CYCLE_1)
	s_and_b32 s51, s0, exec_lo
	s_or_not1_b32 s0, s20, exec_lo
	s_or_b32 exec_lo, exec_lo, s17
	s_and_saveexec_b32 s64, s0
	s_cbranch_execz .LBB3_2
.LBB3_143:
	s_mov_b32 s17, s51
	s_mov_b32 s0, exec_lo
	v_cmpx_ne_u64_e32 0, v[42:43]
	s_xor_b32 s65, exec_lo, s0
	s_cbranch_execz .LBB3_659
; %bb.144:
	v_dual_mov_b32 v1, 0 :: v_dual_mov_b32 v0, v74
	s_mov_b32 s0, 0
                                        ; implicit-def: $sgpr2
                                        ; implicit-def: $sgpr3
                                        ; implicit-def: $sgpr1
	s_branch .LBB3_146
.LBB3_145:                              ;   in Loop: Header=BB3_146 Depth=1
	s_wait_xcnt 0x0
	s_or_b32 exec_lo, exec_lo, s4
	s_xor_b32 s4, s1, -1
	s_and_b32 s5, exec_lo, s3
	s_delay_alu instid0(SALU_CYCLE_1) | instskip(SKIP_2) | instid1(SALU_CYCLE_1)
	s_or_b32 s0, s5, s0
	s_and_not1_b32 s2, s2, exec_lo
	s_and_b32 s4, s4, exec_lo
	s_or_b32 s2, s2, s4
	s_and_not1_b32 exec_lo, exec_lo, s0
	s_cbranch_execz .LBB3_148
.LBB3_146:                              ; =>This Inner Loop Header: Depth=1
	s_or_b32 s1, s1, exec_lo
	s_or_b32 s3, s3, exec_lo
	s_mov_b32 s4, exec_lo
	v_cmpx_lt_i32_e32 0, v0
	s_cbranch_execz .LBB3_145
; %bb.147:                              ;   in Loop: Header=BB3_146 Depth=1
	v_add_nc_u32_e32 v0, -1, v0
	s_and_not1_b32 s3, s3, exec_lo
	s_and_not1_b32 s1, s1, exec_lo
	s_delay_alu instid0(VALU_DEP_1) | instskip(SKIP_4) | instid1(SALU_CYCLE_1)
	v_lshl_add_u64 v[2:3], v[0:1], 2, v[46:47]
	flat_load_b32 v2, v[2:3]
	s_wait_loadcnt_dscnt 0x0
	v_cmp_ne_u32_e32 vcc_lo, 0, v2
	s_and_b32 s5, vcc_lo, exec_lo
	s_or_b32 s3, s3, s5
	s_branch .LBB3_145
.LBB3_148:
	s_or_b32 exec_lo, exec_lo, s0
	s_mov_b32 s1, 0
	s_mov_b32 s0, s51
	s_and_saveexec_b32 s3, s2
	s_delay_alu instid0(SALU_CYCLE_1)
	s_xor_b32 s66, exec_lo, s3
	s_cbranch_execz .LBB3_648
; %bb.149:
	v_dual_mov_b32 v1, 0 :: v_dual_mov_b32 v0, v74
                                        ; implicit-def: $sgpr0
                                        ; implicit-def: $sgpr3
                                        ; implicit-def: $sgpr2
	s_branch .LBB3_151
.LBB3_150:                              ;   in Loop: Header=BB3_151 Depth=1
	s_wait_xcnt 0x0
	s_or_b32 exec_lo, exec_lo, s4
	s_xor_b32 s4, s2, -1
	s_and_b32 s5, exec_lo, s3
	s_delay_alu instid0(SALU_CYCLE_1) | instskip(SKIP_2) | instid1(SALU_CYCLE_1)
	s_or_b32 s1, s5, s1
	s_and_not1_b32 s0, s0, exec_lo
	s_and_b32 s4, s4, exec_lo
	s_or_b32 s0, s0, s4
	s_and_not1_b32 exec_lo, exec_lo, s1
	s_cbranch_execz .LBB3_153
.LBB3_151:                              ; =>This Inner Loop Header: Depth=1
	s_or_b32 s2, s2, exec_lo
	s_or_b32 s3, s3, exec_lo
	s_mov_b32 s4, exec_lo
	v_cmpx_lt_i32_e32 0, v0
	s_cbranch_execz .LBB3_150
; %bb.152:                              ;   in Loop: Header=BB3_151 Depth=1
	v_add_nc_u32_e32 v0, -1, v0
	s_and_not1_b32 s3, s3, exec_lo
	s_and_not1_b32 s2, s2, exec_lo
	s_delay_alu instid0(VALU_DEP_1) | instskip(SKIP_4) | instid1(SALU_CYCLE_1)
	v_lshl_add_u64 v[2:3], v[0:1], 2, v[44:45]
	flat_load_b32 v2, v[2:3]
	s_wait_loadcnt_dscnt 0x0
	v_cmp_ne_u32_e32 vcc_lo, -1, v2
	s_and_b32 s5, vcc_lo, exec_lo
	s_or_b32 s3, s3, s5
	s_branch .LBB3_150
.LBB3_153:
	s_or_b32 exec_lo, exec_lo, s1
	s_mov_b32 s17, 0
	s_mov_b32 s20, s51
	s_and_saveexec_b32 s1, s0
	s_delay_alu instid0(SALU_CYCLE_1)
	s_xor_b32 s67, exec_lo, s1
	s_cbranch_execz .LBB3_499
; %bb.154:
	s_mov_b32 s0, -1
	s_mov_b32 s1, exec_lo
                                        ; implicit-def: $sgpr68
                                        ; implicit-def: $vgpr55
	v_cmpx_lt_i32_e32 0, v4
	s_cbranch_execnz .LBB3_157
; %bb.155:
	s_or_b32 exec_lo, exec_lo, s1
	s_mov_b32 s69, s51
	s_and_saveexec_b32 s20, s0
	s_cbranch_execnz .LBB3_290
.LBB3_156:
	s_or_b32 exec_lo, exec_lo, s20
	s_mov_b32 s0, 0
	s_and_saveexec_b32 s70, s17
	s_cbranch_execnz .LBB3_291
	s_branch .LBB3_498
.LBB3_157:
	v_cmp_lt_i32_e64 s68, 0, v74
	s_mov_b32 s2, 0
                                        ; implicit-def: $sgpr3
	s_branch .LBB3_160
.LBB3_158:                              ;   in Loop: Header=BB3_160 Depth=1
	s_or_b32 exec_lo, exec_lo, s7
	s_delay_alu instid0(SALU_CYCLE_1)
	s_or_not1_b32 s6, s5, exec_lo
	s_or_not1_b32 s5, s0, exec_lo
.LBB3_159:                              ;   in Loop: Header=BB3_160 Depth=1
	s_or_b32 exec_lo, exec_lo, s4
	s_xor_b32 s0, s6, -1
	s_and_b32 s4, exec_lo, s5
	v_add_nc_u32_e32 v4, -1, v4
	s_or_b32 s2, s4, s2
	s_and_not1_b32 s3, s3, exec_lo
	s_and_b32 s0, s0, exec_lo
	s_delay_alu instid0(SALU_CYCLE_1)
	s_or_b32 s3, s3, s0
	s_and_not1_b32 exec_lo, exec_lo, s2
	s_cbranch_execz .LBB3_289
.LBB3_160:                              ; =>This Loop Header: Depth=1
                                        ;     Child Loop BB3_167 Depth 2
                                        ;       Child Loop BB3_170 Depth 3
                                        ;     Child Loop BB3_181 Depth 2
                                        ;     Child Loop BB3_190 Depth 2
	;; [unrolled: 1-line block ×10, first 2 shown]
                                        ;       Child Loop BB3_273 Depth 3
                                        ;     Child Loop BB3_283 Depth 2
	s_mov_b32 s0, 0
	s_mov_b32 s4, exec_lo
                                        ; implicit-def: $vgpr55
	v_cmpx_lt_i32_e32 2, v4
	s_xor_b32 s4, exec_lo, s4
	s_cbranch_execz .LBB3_204
; %bb.161:                              ;   in Loop: Header=BB3_160 Depth=1
	s_mov_b32 s5, exec_lo
                                        ; implicit-def: $vgpr55
	v_cmpx_lt_i32_e32 3, v4
	s_xor_b32 s5, exec_lo, s5
	s_cbranch_execz .LBB3_195
; %bb.162:                              ;   in Loop: Header=BB3_160 Depth=1
	;; [unrolled: 6-line block ×3, first 2 shown]
	s_mov_b32 s7, exec_lo
	v_cmpx_ne_u32_e32 5, v4
	s_xor_b32 s7, exec_lo, s7
	s_cbranch_execz .LBB3_177
; %bb.164:                              ;   in Loop: Header=BB3_160 Depth=1
	s_mov_b32 s0, -1
	s_and_saveexec_b32 s10, s68
	s_cbranch_execz .LBB3_176
; %bb.165:                              ;   in Loop: Header=BB3_160 Depth=1
	v_add_nc_u32_e32 v5, -6, v4
	v_mov_b64_e32 v[8:9], v[46:47]
	s_mov_b32 s11, 0
                                        ; implicit-def: $sgpr12
	s_delay_alu instid0(VALU_DEP_2) | instskip(NEXT) | instid1(VALU_DEP_1)
	v_lshlrev_b32_e64 v2, v5, 1
	v_ashrrev_i32_e32 v3, 31, v2
	v_lshlrev_b32_e64 v0, v5, 2
	v_cmp_ne_u32_e32 vcc_lo, 31, v5
	v_max_i32_e32 v5, 1, v2
	s_delay_alu instid0(VALU_DEP_4) | instskip(NEXT) | instid1(VALU_DEP_4)
	v_lshlrev_b64_e32 v[2:3], 2, v[2:3]
	v_ashrrev_i32_e32 v1, 31, v0
	s_delay_alu instid0(VALU_DEP_1)
	v_lshlrev_b64_e32 v[6:7], 2, v[0:1]
	v_mov_b32_e32 v1, 0
	s_branch .LBB3_167
.LBB3_166:                              ;   in Loop: Header=BB3_167 Depth=2
	s_or_b32 exec_lo, exec_lo, s15
	s_xor_b32 s0, s14, -1
	s_and_b32 s13, exec_lo, s13
	s_delay_alu instid0(SALU_CYCLE_1) | instskip(SKIP_2) | instid1(SALU_CYCLE_1)
	s_or_b32 s11, s13, s11
	s_and_not1_b32 s12, s12, exec_lo
	s_and_b32 s0, s0, exec_lo
	s_or_b32 s12, s12, s0
	s_and_not1_b32 exec_lo, exec_lo, s11
	s_cbranch_execz .LBB3_175
.LBB3_167:                              ;   Parent Loop BB3_160 Depth=1
                                        ; =>  This Loop Header: Depth=2
                                        ;       Child Loop BB3_170 Depth 3
	s_mov_b32 s13, -1
	s_mov_b32 s0, -1
	s_and_saveexec_b32 s14, vcc_lo
	s_cbranch_execz .LBB3_173
; %bb.168:                              ;   in Loop: Header=BB3_167 Depth=2
	v_mov_b64_e32 v[10:11], v[8:9]
	v_mov_b32_e32 v12, v5
	s_mov_b32 s15, 0
                                        ; implicit-def: $sgpr16
                                        ; implicit-def: $sgpr18
                                        ; implicit-def: $sgpr17
	s_branch .LBB3_170
.LBB3_169:                              ;   in Loop: Header=BB3_170 Depth=3
	s_or_b32 exec_lo, exec_lo, s19
	s_xor_b32 s0, s17, -1
	s_and_b32 s19, exec_lo, s18
	s_delay_alu instid0(SALU_CYCLE_1) | instskip(SKIP_2) | instid1(SALU_CYCLE_1)
	s_or_b32 s15, s19, s15
	s_and_not1_b32 s16, s16, exec_lo
	s_and_b32 s0, s0, exec_lo
	s_or_b32 s16, s16, s0
	s_and_not1_b32 exec_lo, exec_lo, s15
	s_cbranch_execz .LBB3_172
.LBB3_170:                              ;   Parent Loop BB3_160 Depth=1
                                        ;     Parent Loop BB3_167 Depth=2
                                        ; =>    This Inner Loop Header: Depth=3
	s_delay_alu instid0(VALU_DEP_2)
	v_add_nc_u64_e32 v[14:15], v[10:11], v[2:3]
	s_or_b32 s17, s17, exec_lo
	s_or_b32 s18, s18, exec_lo
	s_mov_b32 s19, exec_lo
	s_clause 0x1
	flat_load_b32 v13, v[10:11]
	flat_load_b32 v16, v[14:15]
	s_wait_loadcnt_dscnt 0x0
	v_cmpx_eq_u32_e64 v13, v16
	s_cbranch_execz .LBB3_169
; %bb.171:                              ;   in Loop: Header=BB3_170 Depth=3
	v_add_nc_u32_e32 v12, -1, v12
	v_add_nc_u64_e32 v[10:11], 4, v[10:11]
	s_and_not1_b32 s18, s18, exec_lo
	s_and_not1_b32 s17, s17, exec_lo
	s_delay_alu instid0(VALU_DEP_2) | instskip(SKIP_1) | instid1(SALU_CYCLE_1)
	v_cmp_eq_u32_e64 s0, 0, v12
	s_and_b32 s0, s0, exec_lo
	s_or_b32 s18, s18, s0
	s_branch .LBB3_169
.LBB3_172:                              ;   in Loop: Header=BB3_167 Depth=2
	s_or_b32 exec_lo, exec_lo, s15
	s_delay_alu instid0(SALU_CYCLE_1)
	s_or_not1_b32 s0, s16, exec_lo
.LBB3_173:                              ;   in Loop: Header=BB3_167 Depth=2
	s_or_b32 exec_lo, exec_lo, s14
	s_mov_b32 s14, -1
	s_and_saveexec_b32 s15, s0
	s_cbranch_execz .LBB3_166
; %bb.174:                              ;   in Loop: Header=BB3_167 Depth=2
	v_add_nc_u32_e32 v1, v1, v0
	v_add_nc_u64_e32 v[8:9], v[8:9], v[6:7]
	s_xor_b32 s14, exec_lo, -1
	s_delay_alu instid0(VALU_DEP_2)
	v_cmp_ge_i32_e64 s0, v1, v74
	s_or_not1_b32 s13, s0, exec_lo
	s_branch .LBB3_166
.LBB3_175:                              ;   in Loop: Header=BB3_160 Depth=1
	s_or_b32 exec_lo, exec_lo, s11
	s_delay_alu instid0(SALU_CYCLE_1)
	s_or_not1_b32 s0, s12, exec_lo
.LBB3_176:                              ;   in Loop: Header=BB3_160 Depth=1
	s_or_b32 exec_lo, exec_lo, s10
	s_delay_alu instid0(SALU_CYCLE_1)
	s_and_b32 s0, s0, exec_lo
.LBB3_177:                              ;   in Loop: Header=BB3_160 Depth=1
	s_or_saveexec_b32 s7, s7
	v_mov_b32_e32 v55, v4
	s_xor_b32 exec_lo, exec_lo, s7
	s_cbranch_execz .LBB3_185
; %bb.178:                              ;   in Loop: Header=BB3_160 Depth=1
	s_mov_b32 s11, -1
	s_and_saveexec_b32 s10, s68
	s_cbranch_execz .LBB3_184
; %bb.179:                              ;   in Loop: Header=BB3_160 Depth=1
	v_mov_b64_e32 v[0:1], v[46:47]
	v_mov_b32_e32 v2, v74
	s_mov_b32 s11, 0
                                        ; implicit-def: $sgpr12
                                        ; implicit-def: $sgpr14
                                        ; implicit-def: $sgpr13
	s_branch .LBB3_181
.LBB3_180:                              ;   in Loop: Header=BB3_181 Depth=2
	s_or_b32 exec_lo, exec_lo, s15
	s_xor_b32 s15, s13, -1
	s_and_b32 s16, exec_lo, s14
	s_delay_alu instid0(SALU_CYCLE_1) | instskip(SKIP_2) | instid1(SALU_CYCLE_1)
	s_or_b32 s11, s16, s11
	s_and_not1_b32 s12, s12, exec_lo
	s_and_b32 s15, s15, exec_lo
	s_or_b32 s12, s12, s15
	s_and_not1_b32 exec_lo, exec_lo, s11
	s_cbranch_execz .LBB3_183
.LBB3_181:                              ;   Parent Loop BB3_160 Depth=1
                                        ; =>  This Inner Loop Header: Depth=2
	flat_load_b32 v3, v[0:1]
	s_or_b32 s13, s13, exec_lo
	s_or_b32 s14, s14, exec_lo
	s_mov_b32 s15, exec_lo
	s_wait_loadcnt_dscnt 0x0
	v_and_b32_e32 v5, 0xffff, v3
	v_lshrrev_b32_e32 v3, 16, v3
	s_wait_xcnt 0x0
	s_delay_alu instid0(VALU_DEP_1)
	v_cmpx_eq_u32_e64 v5, v3
	s_cbranch_execz .LBB3_180
; %bb.182:                              ;   in Loop: Header=BB3_181 Depth=2
	v_add_nc_u32_e32 v2, -1, v2
	v_add_nc_u64_e32 v[0:1], 4, v[0:1]
	s_and_not1_b32 s14, s14, exec_lo
	s_and_not1_b32 s13, s13, exec_lo
	s_delay_alu instid0(VALU_DEP_2) | instskip(SKIP_1) | instid1(SALU_CYCLE_1)
	v_cmp_eq_u32_e32 vcc_lo, 0, v2
	s_and_b32 s16, vcc_lo, exec_lo
	s_or_b32 s14, s14, s16
	s_branch .LBB3_180
.LBB3_183:                              ;   in Loop: Header=BB3_160 Depth=1
	s_or_b32 exec_lo, exec_lo, s11
	s_delay_alu instid0(SALU_CYCLE_1)
	s_or_not1_b32 s11, s12, exec_lo
.LBB3_184:                              ;   in Loop: Header=BB3_160 Depth=1
	s_or_b32 exec_lo, exec_lo, s10
	v_mov_b32_e32 v55, 5
	s_and_not1_b32 s0, s0, exec_lo
	s_and_b32 s10, s11, exec_lo
	s_delay_alu instid0(SALU_CYCLE_1)
	s_or_b32 s0, s0, s10
.LBB3_185:                              ;   in Loop: Header=BB3_160 Depth=1
	s_or_b32 exec_lo, exec_lo, s7
	s_delay_alu instid0(SALU_CYCLE_1)
	s_and_b32 s0, s0, exec_lo
.LBB3_186:                              ;   in Loop: Header=BB3_160 Depth=1
	s_and_not1_saveexec_b32 s6, s6
	s_cbranch_execz .LBB3_194
; %bb.187:                              ;   in Loop: Header=BB3_160 Depth=1
	s_mov_b32 s10, -1
	s_and_saveexec_b32 s7, s68
	s_cbranch_execz .LBB3_193
; %bb.188:                              ;   in Loop: Header=BB3_160 Depth=1
	v_mov_b64_e32 v[0:1], v[46:47]
	v_mov_b32_e32 v2, v74
	s_mov_b32 s10, 0
                                        ; implicit-def: $sgpr11
                                        ; implicit-def: $sgpr13
                                        ; implicit-def: $sgpr12
	s_branch .LBB3_190
.LBB3_189:                              ;   in Loop: Header=BB3_190 Depth=2
	s_or_b32 exec_lo, exec_lo, s14
	s_xor_b32 s14, s12, -1
	s_and_b32 s15, exec_lo, s13
	s_delay_alu instid0(SALU_CYCLE_1) | instskip(SKIP_2) | instid1(SALU_CYCLE_1)
	s_or_b32 s10, s15, s10
	s_and_not1_b32 s11, s11, exec_lo
	s_and_b32 s14, s14, exec_lo
	s_or_b32 s11, s11, s14
	s_and_not1_b32 exec_lo, exec_lo, s10
	s_cbranch_execz .LBB3_192
.LBB3_190:                              ;   Parent Loop BB3_160 Depth=1
                                        ; =>  This Inner Loop Header: Depth=2
	flat_load_b32 v3, v[0:1]
	s_or_b32 s12, s12, exec_lo
	s_or_b32 s13, s13, exec_lo
	s_mov_b32 s14, exec_lo
	s_wait_loadcnt_dscnt 0x0
	v_lshrrev_b32_e32 v5, 8, v3
	s_delay_alu instid0(VALU_DEP_1) | instskip(SKIP_1) | instid1(VALU_DEP_1)
	v_bitop3_b32 v3, v5, 0xff00ff, v3 bitop3:0x48
	s_wait_xcnt 0x0
	v_cmpx_eq_u32_e32 0, v3
	s_cbranch_execz .LBB3_189
; %bb.191:                              ;   in Loop: Header=BB3_190 Depth=2
	v_add_nc_u32_e32 v2, -1, v2
	v_add_nc_u64_e32 v[0:1], 4, v[0:1]
	s_and_not1_b32 s13, s13, exec_lo
	s_and_not1_b32 s12, s12, exec_lo
	s_delay_alu instid0(VALU_DEP_2) | instskip(SKIP_1) | instid1(SALU_CYCLE_1)
	v_cmp_eq_u32_e32 vcc_lo, 0, v2
	s_and_b32 s15, vcc_lo, exec_lo
	s_or_b32 s13, s13, s15
	s_branch .LBB3_189
.LBB3_192:                              ;   in Loop: Header=BB3_160 Depth=1
	s_or_b32 exec_lo, exec_lo, s10
	s_delay_alu instid0(SALU_CYCLE_1)
	s_or_not1_b32 s10, s11, exec_lo
.LBB3_193:                              ;   in Loop: Header=BB3_160 Depth=1
	s_or_b32 exec_lo, exec_lo, s7
	v_mov_b32_e32 v55, 4
	s_and_not1_b32 s0, s0, exec_lo
	s_and_b32 s7, s10, exec_lo
	s_delay_alu instid0(SALU_CYCLE_1)
	s_or_b32 s0, s0, s7
.LBB3_194:                              ;   in Loop: Header=BB3_160 Depth=1
	s_or_b32 exec_lo, exec_lo, s6
	s_delay_alu instid0(SALU_CYCLE_1)
	s_and_b32 s0, s0, exec_lo
.LBB3_195:                              ;   in Loop: Header=BB3_160 Depth=1
	s_and_not1_saveexec_b32 s5, s5
	s_cbranch_execz .LBB3_203
; %bb.196:                              ;   in Loop: Header=BB3_160 Depth=1
	s_mov_b32 s7, -1
	s_and_saveexec_b32 s6, s68
	s_cbranch_execz .LBB3_202
; %bb.197:                              ;   in Loop: Header=BB3_160 Depth=1
	v_mov_b64_e32 v[0:1], v[46:47]
	v_mov_b32_e32 v2, v74
	s_mov_b32 s7, 0
                                        ; implicit-def: $sgpr10
                                        ; implicit-def: $sgpr12
                                        ; implicit-def: $sgpr11
	s_branch .LBB3_199
.LBB3_198:                              ;   in Loop: Header=BB3_199 Depth=2
	s_or_b32 exec_lo, exec_lo, s13
	s_xor_b32 s13, s11, -1
	s_and_b32 s14, exec_lo, s12
	s_delay_alu instid0(SALU_CYCLE_1) | instskip(SKIP_2) | instid1(SALU_CYCLE_1)
	s_or_b32 s7, s14, s7
	s_and_not1_b32 s10, s10, exec_lo
	s_and_b32 s13, s13, exec_lo
	s_or_b32 s10, s10, s13
	s_and_not1_b32 exec_lo, exec_lo, s7
	s_cbranch_execz .LBB3_201
.LBB3_199:                              ;   Parent Loop BB3_160 Depth=1
                                        ; =>  This Inner Loop Header: Depth=2
	flat_load_b32 v3, v[0:1]
	s_or_b32 s11, s11, exec_lo
	s_or_b32 s12, s12, exec_lo
	s_mov_b32 s13, exec_lo
	s_wait_loadcnt_dscnt 0x0
	v_lshrrev_b32_e32 v5, 4, v3
	s_delay_alu instid0(VALU_DEP_1) | instskip(SKIP_1) | instid1(VALU_DEP_1)
	v_bitop3_b32 v3, v5, 0xf0f0f0f, v3 bitop3:0x48
	s_wait_xcnt 0x0
	v_cmpx_eq_u32_e32 0, v3
	s_cbranch_execz .LBB3_198
; %bb.200:                              ;   in Loop: Header=BB3_199 Depth=2
	v_add_nc_u32_e32 v2, -1, v2
	v_add_nc_u64_e32 v[0:1], 4, v[0:1]
	s_and_not1_b32 s12, s12, exec_lo
	s_and_not1_b32 s11, s11, exec_lo
	s_delay_alu instid0(VALU_DEP_2) | instskip(SKIP_1) | instid1(SALU_CYCLE_1)
	v_cmp_eq_u32_e32 vcc_lo, 0, v2
	s_and_b32 s14, vcc_lo, exec_lo
	s_or_b32 s12, s12, s14
	s_branch .LBB3_198
.LBB3_201:                              ;   in Loop: Header=BB3_160 Depth=1
	s_or_b32 exec_lo, exec_lo, s7
	s_delay_alu instid0(SALU_CYCLE_1)
	s_or_not1_b32 s7, s10, exec_lo
.LBB3_202:                              ;   in Loop: Header=BB3_160 Depth=1
	s_or_b32 exec_lo, exec_lo, s6
	v_mov_b32_e32 v55, 3
	s_and_not1_b32 s0, s0, exec_lo
	s_and_b32 s6, s7, exec_lo
	s_delay_alu instid0(SALU_CYCLE_1)
	s_or_b32 s0, s0, s6
.LBB3_203:                              ;   in Loop: Header=BB3_160 Depth=1
	s_or_b32 exec_lo, exec_lo, s5
	s_delay_alu instid0(SALU_CYCLE_1)
	s_and_b32 s0, s0, exec_lo
.LBB3_204:                              ;   in Loop: Header=BB3_160 Depth=1
	s_and_not1_saveexec_b32 s4, s4
	s_cbranch_execz .LBB3_222
; %bb.205:                              ;   in Loop: Header=BB3_160 Depth=1
	s_mov_b32 s5, s0
	s_mov_b32 s6, exec_lo
	v_cmpx_lt_i32_e32 1, v4
	s_xor_b32 s6, exec_lo, s6
	s_cbranch_execz .LBB3_213
; %bb.206:                              ;   in Loop: Header=BB3_160 Depth=1
	s_mov_b32 s7, -1
	s_and_saveexec_b32 s5, s68
	s_cbranch_execz .LBB3_212
; %bb.207:                              ;   in Loop: Header=BB3_160 Depth=1
	v_mov_b64_e32 v[0:1], v[46:47]
	v_mov_b32_e32 v2, v74
	s_mov_b32 s7, 0
                                        ; implicit-def: $sgpr10
                                        ; implicit-def: $sgpr12
                                        ; implicit-def: $sgpr11
	s_branch .LBB3_209
.LBB3_208:                              ;   in Loop: Header=BB3_209 Depth=2
	s_or_b32 exec_lo, exec_lo, s13
	s_xor_b32 s13, s11, -1
	s_and_b32 s14, exec_lo, s12
	s_delay_alu instid0(SALU_CYCLE_1) | instskip(SKIP_2) | instid1(SALU_CYCLE_1)
	s_or_b32 s7, s14, s7
	s_and_not1_b32 s10, s10, exec_lo
	s_and_b32 s13, s13, exec_lo
	s_or_b32 s10, s10, s13
	s_and_not1_b32 exec_lo, exec_lo, s7
	s_cbranch_execz .LBB3_211
.LBB3_209:                              ;   Parent Loop BB3_160 Depth=1
                                        ; =>  This Inner Loop Header: Depth=2
	flat_load_b32 v3, v[0:1]
	s_or_b32 s11, s11, exec_lo
	s_or_b32 s12, s12, exec_lo
	s_mov_b32 s13, exec_lo
	s_wait_loadcnt_dscnt 0x0
	v_lshrrev_b32_e32 v5, 2, v3
	s_delay_alu instid0(VALU_DEP_1) | instskip(SKIP_1) | instid1(VALU_DEP_1)
	v_bitop3_b32 v3, v5, 0x33333333, v3 bitop3:0x48
	s_wait_xcnt 0x0
	v_cmpx_eq_u32_e32 0, v3
	s_cbranch_execz .LBB3_208
; %bb.210:                              ;   in Loop: Header=BB3_209 Depth=2
	v_add_nc_u32_e32 v2, -1, v2
	v_add_nc_u64_e32 v[0:1], 4, v[0:1]
	s_and_not1_b32 s12, s12, exec_lo
	s_and_not1_b32 s11, s11, exec_lo
	s_delay_alu instid0(VALU_DEP_2) | instskip(SKIP_1) | instid1(SALU_CYCLE_1)
	v_cmp_eq_u32_e32 vcc_lo, 0, v2
	s_and_b32 s14, vcc_lo, exec_lo
	s_or_b32 s12, s12, s14
	s_branch .LBB3_208
.LBB3_211:                              ;   in Loop: Header=BB3_160 Depth=1
	s_or_b32 exec_lo, exec_lo, s7
	s_delay_alu instid0(SALU_CYCLE_1)
	s_or_not1_b32 s7, s10, exec_lo
.LBB3_212:                              ;   in Loop: Header=BB3_160 Depth=1
	s_or_b32 exec_lo, exec_lo, s5
	s_delay_alu instid0(SALU_CYCLE_1) | instskip(SKIP_1) | instid1(SALU_CYCLE_1)
	s_and_not1_b32 s5, s0, exec_lo
	s_and_b32 s7, s7, exec_lo
	s_or_b32 s5, s5, s7
.LBB3_213:                              ;   in Loop: Header=BB3_160 Depth=1
	s_or_saveexec_b32 s6, s6
	v_mov_b32_e32 v55, 2
	s_xor_b32 exec_lo, exec_lo, s6
	s_cbranch_execz .LBB3_221
; %bb.214:                              ;   in Loop: Header=BB3_160 Depth=1
	s_mov_b32 s10, -1
	s_and_saveexec_b32 s7, s68
	s_cbranch_execz .LBB3_220
; %bb.215:                              ;   in Loop: Header=BB3_160 Depth=1
	v_mov_b64_e32 v[0:1], v[46:47]
	v_mov_b32_e32 v2, v74
	s_mov_b32 s10, 0
                                        ; implicit-def: $sgpr11
                                        ; implicit-def: $sgpr13
                                        ; implicit-def: $sgpr12
	s_branch .LBB3_217
.LBB3_216:                              ;   in Loop: Header=BB3_217 Depth=2
	s_or_b32 exec_lo, exec_lo, s14
	s_xor_b32 s14, s12, -1
	s_and_b32 s15, exec_lo, s13
	s_delay_alu instid0(SALU_CYCLE_1) | instskip(SKIP_2) | instid1(SALU_CYCLE_1)
	s_or_b32 s10, s15, s10
	s_and_not1_b32 s11, s11, exec_lo
	s_and_b32 s14, s14, exec_lo
	s_or_b32 s11, s11, s14
	s_and_not1_b32 exec_lo, exec_lo, s10
	s_cbranch_execz .LBB3_219
.LBB3_217:                              ;   Parent Loop BB3_160 Depth=1
                                        ; =>  This Inner Loop Header: Depth=2
	flat_load_b32 v3, v[0:1]
	s_or_b32 s12, s12, exec_lo
	s_or_b32 s13, s13, exec_lo
	s_mov_b32 s14, exec_lo
	s_wait_loadcnt_dscnt 0x0
	v_lshrrev_b32_e32 v5, 1, v3
	s_delay_alu instid0(VALU_DEP_1) | instskip(SKIP_1) | instid1(VALU_DEP_1)
	v_bitop3_b32 v3, v5, 0x55555555, v3 bitop3:0x48
	s_wait_xcnt 0x0
	v_cmpx_eq_u32_e32 0, v3
	s_cbranch_execz .LBB3_216
; %bb.218:                              ;   in Loop: Header=BB3_217 Depth=2
	v_add_nc_u32_e32 v2, -1, v2
	v_add_nc_u64_e32 v[0:1], 4, v[0:1]
	s_and_not1_b32 s13, s13, exec_lo
	s_and_not1_b32 s12, s12, exec_lo
	s_delay_alu instid0(VALU_DEP_2) | instskip(SKIP_1) | instid1(SALU_CYCLE_1)
	v_cmp_eq_u32_e32 vcc_lo, 0, v2
	s_and_b32 s15, vcc_lo, exec_lo
	s_or_b32 s13, s13, s15
	s_branch .LBB3_216
.LBB3_219:                              ;   in Loop: Header=BB3_160 Depth=1
	s_or_b32 exec_lo, exec_lo, s10
	s_delay_alu instid0(SALU_CYCLE_1)
	s_or_not1_b32 s10, s11, exec_lo
.LBB3_220:                              ;   in Loop: Header=BB3_160 Depth=1
	s_or_b32 exec_lo, exec_lo, s7
	s_delay_alu instid0(SALU_CYCLE_1)
	s_and_not1_b32 s5, s5, exec_lo
	s_and_b32 s7, s10, exec_lo
	v_mov_b32_e32 v55, 1
	s_or_b32 s5, s5, s7
.LBB3_221:                              ;   in Loop: Header=BB3_160 Depth=1
	s_or_b32 exec_lo, exec_lo, s6
	s_delay_alu instid0(SALU_CYCLE_1) | instskip(SKIP_1) | instid1(SALU_CYCLE_1)
	s_and_not1_b32 s0, s0, exec_lo
	s_and_b32 s5, s5, exec_lo
	s_or_b32 s0, s0, s5
.LBB3_222:                              ;   in Loop: Header=BB3_160 Depth=1
	s_or_b32 exec_lo, exec_lo, s4
	s_mov_b32 s5, -1
	s_mov_b32 s6, -1
	s_and_saveexec_b32 s4, s0
	s_cbranch_execz .LBB3_159
; %bb.223:                              ;   in Loop: Header=BB3_160 Depth=1
	s_mov_b32 s5, 0
	s_mov_b32 s10, 0
	;; [unrolled: 1-line block ×3, first 2 shown]
	s_mov_b32 s0, exec_lo
                                        ; implicit-def: $vgpr55
	v_cmpx_lt_i32_e32 2, v4
	s_xor_b32 s0, exec_lo, s0
	s_cbranch_execnz .LBB3_227
; %bb.224:                              ;   in Loop: Header=BB3_160 Depth=1
	s_and_not1_saveexec_b32 s0, s0
	s_cbranch_execnz .LBB3_256
.LBB3_225:                              ;   in Loop: Header=BB3_160 Depth=1
	s_or_b32 exec_lo, exec_lo, s0
	s_and_saveexec_b32 s7, s10
	s_cbranch_execnz .LBB3_267
.LBB3_226:                              ;   in Loop: Header=BB3_160 Depth=1
	s_or_b32 exec_lo, exec_lo, s7
	s_and_saveexec_b32 s0, s5
	s_delay_alu instid0(SALU_CYCLE_1)
	s_xor_b32 s0, exec_lo, s0
	s_cbranch_execnz .LBB3_280
	s_branch .LBB3_287
.LBB3_227:                              ;   in Loop: Header=BB3_160 Depth=1
	s_mov_b32 s7, 0
	s_mov_b32 s6, exec_lo
                                        ; implicit-def: $vgpr55
	v_cmpx_lt_i32_e32 3, v4
	s_xor_b32 s6, exec_lo, s6
	s_cbranch_execz .LBB3_247
; %bb.228:                              ;   in Loop: Header=BB3_160 Depth=1
	s_mov_b32 s11, exec_lo
	v_cmpx_lt_i32_e32 4, v4
	s_xor_b32 s11, exec_lo, s11
	s_cbranch_execz .LBB3_238
; %bb.229:                              ;   in Loop: Header=BB3_160 Depth=1
	s_mov_b32 s12, -1
	s_mov_b32 s7, exec_lo
	v_cmpx_eq_u32_e32 5, v4
	s_cbranch_execz .LBB3_237
; %bb.230:                              ;   in Loop: Header=BB3_160 Depth=1
	s_and_saveexec_b32 s10, s68
	s_cbranch_execz .LBB3_236
; %bb.231:                              ;   in Loop: Header=BB3_160 Depth=1
	v_mov_b64_e32 v[0:1], v[44:45]
	v_mov_b32_e32 v2, v74
	s_mov_b32 s12, 0
                                        ; implicit-def: $sgpr13
                                        ; implicit-def: $sgpr15
                                        ; implicit-def: $sgpr14
	s_branch .LBB3_233
.LBB3_232:                              ;   in Loop: Header=BB3_233 Depth=2
	s_or_b32 exec_lo, exec_lo, s16
	s_xor_b32 s16, s14, -1
	s_and_b32 s17, exec_lo, s15
	s_delay_alu instid0(SALU_CYCLE_1) | instskip(SKIP_2) | instid1(SALU_CYCLE_1)
	s_or_b32 s12, s17, s12
	s_and_not1_b32 s13, s13, exec_lo
	s_and_b32 s16, s16, exec_lo
	s_or_b32 s13, s13, s16
	s_and_not1_b32 exec_lo, exec_lo, s12
	s_cbranch_execz .LBB3_235
.LBB3_233:                              ;   Parent Loop BB3_160 Depth=1
                                        ; =>  This Inner Loop Header: Depth=2
	flat_load_b32 v3, v[0:1]
	s_or_b32 s14, s14, exec_lo
	s_or_b32 s15, s15, exec_lo
	s_mov_b32 s16, exec_lo
	s_wait_loadcnt_dscnt 0x0
	v_and_b32_e32 v5, 0xffff, v3
	v_lshrrev_b32_e32 v3, 16, v3
	s_wait_xcnt 0x0
	s_delay_alu instid0(VALU_DEP_1)
	v_cmpx_eq_u32_e64 v5, v3
	s_cbranch_execz .LBB3_232
; %bb.234:                              ;   in Loop: Header=BB3_233 Depth=2
	v_add_nc_u32_e32 v2, -1, v2
	v_add_nc_u64_e32 v[0:1], 4, v[0:1]
	s_and_not1_b32 s15, s15, exec_lo
	s_and_not1_b32 s14, s14, exec_lo
	s_delay_alu instid0(VALU_DEP_2) | instskip(SKIP_1) | instid1(SALU_CYCLE_1)
	v_cmp_eq_u32_e32 vcc_lo, 0, v2
	s_and_b32 s17, vcc_lo, exec_lo
	s_or_b32 s15, s15, s17
	s_branch .LBB3_232
.LBB3_235:                              ;   in Loop: Header=BB3_160 Depth=1
	s_or_b32 exec_lo, exec_lo, s12
	s_delay_alu instid0(SALU_CYCLE_1)
	s_or_not1_b32 s12, s13, exec_lo
.LBB3_236:                              ;   in Loop: Header=BB3_160 Depth=1
	s_or_b32 exec_lo, exec_lo, s10
	s_delay_alu instid0(SALU_CYCLE_1)
	s_and_b32 s10, s12, exec_lo
	s_xor_b32 s12, exec_lo, -1
.LBB3_237:                              ;   in Loop: Header=BB3_160 Depth=1
	s_or_b32 exec_lo, exec_lo, s7
	s_delay_alu instid0(SALU_CYCLE_1)
	s_and_b32 s10, s10, exec_lo
	s_and_b32 s7, s12, exec_lo
.LBB3_238:                              ;   in Loop: Header=BB3_160 Depth=1
	s_or_saveexec_b32 s11, s11
	v_mov_b32_e32 v55, 5
	s_xor_b32 exec_lo, exec_lo, s11
	s_cbranch_execz .LBB3_246
; %bb.239:                              ;   in Loop: Header=BB3_160 Depth=1
	s_mov_b32 s13, -1
	s_and_saveexec_b32 s12, s68
	s_cbranch_execz .LBB3_245
; %bb.240:                              ;   in Loop: Header=BB3_160 Depth=1
	v_mov_b64_e32 v[0:1], v[44:45]
	v_mov_b32_e32 v2, v74
	s_mov_b32 s13, 0
                                        ; implicit-def: $sgpr14
                                        ; implicit-def: $sgpr16
                                        ; implicit-def: $sgpr15
	s_branch .LBB3_242
.LBB3_241:                              ;   in Loop: Header=BB3_242 Depth=2
	s_or_b32 exec_lo, exec_lo, s17
	s_xor_b32 s17, s15, -1
	s_and_b32 s18, exec_lo, s16
	s_delay_alu instid0(SALU_CYCLE_1) | instskip(SKIP_2) | instid1(SALU_CYCLE_1)
	s_or_b32 s13, s18, s13
	s_and_not1_b32 s14, s14, exec_lo
	s_and_b32 s17, s17, exec_lo
	s_or_b32 s14, s14, s17
	s_and_not1_b32 exec_lo, exec_lo, s13
	s_cbranch_execz .LBB3_244
.LBB3_242:                              ;   Parent Loop BB3_160 Depth=1
                                        ; =>  This Inner Loop Header: Depth=2
	flat_load_b32 v3, v[0:1]
	s_or_b32 s15, s15, exec_lo
	s_or_b32 s16, s16, exec_lo
	s_mov_b32 s17, exec_lo
	s_wait_loadcnt_dscnt 0x0
	v_lshrrev_b32_e32 v5, 8, v3
	s_delay_alu instid0(VALU_DEP_1) | instskip(SKIP_1) | instid1(VALU_DEP_1)
	v_bitop3_b32 v3, v5, 0xff00ff, v3 bitop3:0x48
	s_wait_xcnt 0x0
	v_cmpx_eq_u32_e32 0, v3
	s_cbranch_execz .LBB3_241
; %bb.243:                              ;   in Loop: Header=BB3_242 Depth=2
	v_add_nc_u32_e32 v2, -1, v2
	v_add_nc_u64_e32 v[0:1], 4, v[0:1]
	s_and_not1_b32 s16, s16, exec_lo
	s_and_not1_b32 s15, s15, exec_lo
	s_delay_alu instid0(VALU_DEP_2) | instskip(SKIP_1) | instid1(SALU_CYCLE_1)
	v_cmp_eq_u32_e32 vcc_lo, 0, v2
	s_and_b32 s18, vcc_lo, exec_lo
	s_or_b32 s16, s16, s18
	s_branch .LBB3_241
.LBB3_244:                              ;   in Loop: Header=BB3_160 Depth=1
	s_or_b32 exec_lo, exec_lo, s13
	s_delay_alu instid0(SALU_CYCLE_1)
	s_or_not1_b32 s13, s14, exec_lo
.LBB3_245:                              ;   in Loop: Header=BB3_160 Depth=1
	s_or_b32 exec_lo, exec_lo, s12
	v_mov_b32_e32 v55, 4
	s_and_not1_b32 s10, s10, exec_lo
	s_and_b32 s12, s13, exec_lo
	s_delay_alu instid0(SALU_CYCLE_1)
	s_or_b32 s10, s10, s12
.LBB3_246:                              ;   in Loop: Header=BB3_160 Depth=1
	s_or_b32 exec_lo, exec_lo, s11
	s_delay_alu instid0(SALU_CYCLE_1)
	s_and_b32 s10, s10, exec_lo
	s_and_b32 s7, s7, exec_lo
.LBB3_247:                              ;   in Loop: Header=BB3_160 Depth=1
	s_and_not1_saveexec_b32 s6, s6
	s_cbranch_execz .LBB3_255
; %bb.248:                              ;   in Loop: Header=BB3_160 Depth=1
	s_mov_b32 s12, -1
	s_and_saveexec_b32 s11, s68
	s_cbranch_execz .LBB3_254
; %bb.249:                              ;   in Loop: Header=BB3_160 Depth=1
	v_mov_b64_e32 v[0:1], v[44:45]
	v_mov_b32_e32 v2, v74
	s_mov_b32 s12, 0
                                        ; implicit-def: $sgpr13
                                        ; implicit-def: $sgpr15
                                        ; implicit-def: $sgpr14
	s_branch .LBB3_251
.LBB3_250:                              ;   in Loop: Header=BB3_251 Depth=2
	s_or_b32 exec_lo, exec_lo, s16
	s_xor_b32 s16, s14, -1
	s_and_b32 s17, exec_lo, s15
	s_delay_alu instid0(SALU_CYCLE_1) | instskip(SKIP_2) | instid1(SALU_CYCLE_1)
	s_or_b32 s12, s17, s12
	s_and_not1_b32 s13, s13, exec_lo
	s_and_b32 s16, s16, exec_lo
	s_or_b32 s13, s13, s16
	s_and_not1_b32 exec_lo, exec_lo, s12
	s_cbranch_execz .LBB3_253
.LBB3_251:                              ;   Parent Loop BB3_160 Depth=1
                                        ; =>  This Inner Loop Header: Depth=2
	flat_load_b32 v3, v[0:1]
	s_or_b32 s14, s14, exec_lo
	s_or_b32 s15, s15, exec_lo
	s_mov_b32 s16, exec_lo
	s_wait_loadcnt_dscnt 0x0
	v_lshrrev_b32_e32 v5, 4, v3
	s_delay_alu instid0(VALU_DEP_1) | instskip(SKIP_1) | instid1(VALU_DEP_1)
	v_bitop3_b32 v3, v5, 0xf0f0f0f, v3 bitop3:0x48
	s_wait_xcnt 0x0
	v_cmpx_eq_u32_e32 0, v3
	s_cbranch_execz .LBB3_250
; %bb.252:                              ;   in Loop: Header=BB3_251 Depth=2
	v_add_nc_u32_e32 v2, -1, v2
	v_add_nc_u64_e32 v[0:1], 4, v[0:1]
	s_and_not1_b32 s15, s15, exec_lo
	s_and_not1_b32 s14, s14, exec_lo
	s_delay_alu instid0(VALU_DEP_2) | instskip(SKIP_1) | instid1(SALU_CYCLE_1)
	v_cmp_eq_u32_e32 vcc_lo, 0, v2
	s_and_b32 s17, vcc_lo, exec_lo
	s_or_b32 s15, s15, s17
	s_branch .LBB3_250
.LBB3_253:                              ;   in Loop: Header=BB3_160 Depth=1
	s_or_b32 exec_lo, exec_lo, s12
	s_delay_alu instid0(SALU_CYCLE_1)
	s_or_not1_b32 s12, s13, exec_lo
.LBB3_254:                              ;   in Loop: Header=BB3_160 Depth=1
	s_or_b32 exec_lo, exec_lo, s11
	v_mov_b32_e32 v55, 3
	s_and_not1_b32 s10, s10, exec_lo
	s_and_b32 s11, s12, exec_lo
	s_delay_alu instid0(SALU_CYCLE_1)
	s_or_b32 s10, s10, s11
.LBB3_255:                              ;   in Loop: Header=BB3_160 Depth=1
	s_or_b32 exec_lo, exec_lo, s6
	s_delay_alu instid0(SALU_CYCLE_1)
	s_and_b32 s6, s10, exec_lo
	s_and_b32 s10, s7, exec_lo
	s_and_not1_saveexec_b32 s0, s0
	s_cbranch_execz .LBB3_225
.LBB3_256:                              ;   in Loop: Header=BB3_160 Depth=1
	s_mov_b32 s7, s6
	s_mov_b32 s5, exec_lo
	v_cmpx_lt_i32_e32 1, v4
	s_xor_b32 s5, exec_lo, s5
	s_cbranch_execz .LBB3_264
; %bb.257:                              ;   in Loop: Header=BB3_160 Depth=1
	s_mov_b32 s11, -1
	s_and_saveexec_b32 s7, s68
	s_cbranch_execz .LBB3_263
; %bb.258:                              ;   in Loop: Header=BB3_160 Depth=1
	v_mov_b64_e32 v[0:1], v[44:45]
	v_mov_b32_e32 v2, v74
	s_mov_b32 s11, 0
                                        ; implicit-def: $sgpr12
                                        ; implicit-def: $sgpr14
                                        ; implicit-def: $sgpr13
	s_branch .LBB3_260
.LBB3_259:                              ;   in Loop: Header=BB3_260 Depth=2
	s_or_b32 exec_lo, exec_lo, s15
	s_xor_b32 s15, s13, -1
	s_and_b32 s16, exec_lo, s14
	s_delay_alu instid0(SALU_CYCLE_1) | instskip(SKIP_2) | instid1(SALU_CYCLE_1)
	s_or_b32 s11, s16, s11
	s_and_not1_b32 s12, s12, exec_lo
	s_and_b32 s15, s15, exec_lo
	s_or_b32 s12, s12, s15
	s_and_not1_b32 exec_lo, exec_lo, s11
	s_cbranch_execz .LBB3_262
.LBB3_260:                              ;   Parent Loop BB3_160 Depth=1
                                        ; =>  This Inner Loop Header: Depth=2
	flat_load_b32 v3, v[0:1]
	s_or_b32 s13, s13, exec_lo
	s_or_b32 s14, s14, exec_lo
	s_mov_b32 s15, exec_lo
	s_wait_loadcnt_dscnt 0x0
	v_lshrrev_b32_e32 v5, 2, v3
	s_delay_alu instid0(VALU_DEP_1) | instskip(SKIP_1) | instid1(VALU_DEP_1)
	v_bitop3_b32 v3, v5, 0x33333333, v3 bitop3:0x48
	s_wait_xcnt 0x0
	v_cmpx_eq_u32_e32 0, v3
	s_cbranch_execz .LBB3_259
; %bb.261:                              ;   in Loop: Header=BB3_260 Depth=2
	v_add_nc_u32_e32 v2, -1, v2
	v_add_nc_u64_e32 v[0:1], 4, v[0:1]
	s_and_not1_b32 s14, s14, exec_lo
	s_and_not1_b32 s13, s13, exec_lo
	s_delay_alu instid0(VALU_DEP_2) | instskip(SKIP_1) | instid1(SALU_CYCLE_1)
	v_cmp_eq_u32_e32 vcc_lo, 0, v2
	s_and_b32 s16, vcc_lo, exec_lo
	s_or_b32 s14, s14, s16
	s_branch .LBB3_259
.LBB3_262:                              ;   in Loop: Header=BB3_160 Depth=1
	s_or_b32 exec_lo, exec_lo, s11
	s_delay_alu instid0(SALU_CYCLE_1)
	s_or_not1_b32 s11, s12, exec_lo
.LBB3_263:                              ;   in Loop: Header=BB3_160 Depth=1
	s_or_b32 exec_lo, exec_lo, s7
	s_delay_alu instid0(SALU_CYCLE_1) | instskip(SKIP_1) | instid1(SALU_CYCLE_1)
	s_and_not1_b32 s7, s6, exec_lo
	s_and_b32 s11, s11, exec_lo
	s_or_b32 s7, s7, s11
.LBB3_264:                              ;   in Loop: Header=BB3_160 Depth=1
	s_or_saveexec_b32 s11, s5
	s_mov_b32 s5, 0
	s_mov_b32 s12, s10
	s_xor_b32 exec_lo, exec_lo, s11
; %bb.265:                              ;   in Loop: Header=BB3_160 Depth=1
	v_cmp_ne_u32_e32 vcc_lo, 1, v4
	s_and_not1_b32 s12, s10, exec_lo
	s_mov_b32 s5, exec_lo
	s_and_b32 s13, vcc_lo, exec_lo
	s_delay_alu instid0(SALU_CYCLE_1)
	s_or_b32 s12, s12, s13
; %bb.266:                              ;   in Loop: Header=BB3_160 Depth=1
	s_or_b32 exec_lo, exec_lo, s11
	s_delay_alu instid0(SALU_CYCLE_1)
	s_and_not1_b32 s6, s6, exec_lo
	s_and_b32 s7, s7, exec_lo
	v_mov_b32_e32 v55, 2
	s_or_b32 s6, s6, s7
	s_and_not1_b32 s7, s10, exec_lo
	s_and_b32 s10, s12, exec_lo
	s_and_b32 s5, s5, exec_lo
	s_or_b32 s10, s7, s10
	s_or_b32 exec_lo, exec_lo, s0
	s_and_saveexec_b32 s7, s10
	s_cbranch_execz .LBB3_226
.LBB3_267:                              ;   in Loop: Header=BB3_160 Depth=1
	s_mov_b32 s0, -1
	s_and_saveexec_b32 s10, s68
	s_cbranch_execz .LBB3_279
; %bb.268:                              ;   in Loop: Header=BB3_160 Depth=1
	v_add_nc_u32_e32 v5, -6, v4
	v_mov_b64_e32 v[8:9], v[44:45]
	s_mov_b32 s11, 0
                                        ; implicit-def: $sgpr12
	s_delay_alu instid0(VALU_DEP_2) | instskip(NEXT) | instid1(VALU_DEP_1)
	v_lshlrev_b32_e64 v2, v5, 1
	v_ashrrev_i32_e32 v3, 31, v2
	v_lshlrev_b32_e64 v0, v5, 2
	v_cmp_ne_u32_e32 vcc_lo, 31, v5
	v_max_i32_e32 v5, 1, v2
	s_delay_alu instid0(VALU_DEP_4) | instskip(NEXT) | instid1(VALU_DEP_4)
	v_lshlrev_b64_e32 v[2:3], 2, v[2:3]
	v_ashrrev_i32_e32 v1, 31, v0
	s_delay_alu instid0(VALU_DEP_1)
	v_lshlrev_b64_e32 v[6:7], 2, v[0:1]
	v_mov_b32_e32 v1, 0
	s_branch .LBB3_270
.LBB3_269:                              ;   in Loop: Header=BB3_270 Depth=2
	s_or_b32 exec_lo, exec_lo, s15
	s_xor_b32 s0, s14, -1
	s_and_b32 s13, exec_lo, s13
	s_delay_alu instid0(SALU_CYCLE_1) | instskip(SKIP_2) | instid1(SALU_CYCLE_1)
	s_or_b32 s11, s13, s11
	s_and_not1_b32 s12, s12, exec_lo
	s_and_b32 s0, s0, exec_lo
	s_or_b32 s12, s12, s0
	s_and_not1_b32 exec_lo, exec_lo, s11
	s_cbranch_execz .LBB3_278
.LBB3_270:                              ;   Parent Loop BB3_160 Depth=1
                                        ; =>  This Loop Header: Depth=2
                                        ;       Child Loop BB3_273 Depth 3
	s_mov_b32 s13, -1
	s_mov_b32 s0, -1
	s_and_saveexec_b32 s14, vcc_lo
	s_cbranch_execz .LBB3_276
; %bb.271:                              ;   in Loop: Header=BB3_270 Depth=2
	v_mov_b64_e32 v[10:11], v[8:9]
	v_mov_b32_e32 v12, v5
	s_mov_b32 s15, 0
                                        ; implicit-def: $sgpr16
                                        ; implicit-def: $sgpr18
                                        ; implicit-def: $sgpr17
	s_branch .LBB3_273
.LBB3_272:                              ;   in Loop: Header=BB3_273 Depth=3
	s_or_b32 exec_lo, exec_lo, s19
	s_xor_b32 s0, s17, -1
	s_and_b32 s19, exec_lo, s18
	s_delay_alu instid0(SALU_CYCLE_1) | instskip(SKIP_2) | instid1(SALU_CYCLE_1)
	s_or_b32 s15, s19, s15
	s_and_not1_b32 s16, s16, exec_lo
	s_and_b32 s0, s0, exec_lo
	s_or_b32 s16, s16, s0
	s_and_not1_b32 exec_lo, exec_lo, s15
	s_cbranch_execz .LBB3_275
.LBB3_273:                              ;   Parent Loop BB3_160 Depth=1
                                        ;     Parent Loop BB3_270 Depth=2
                                        ; =>    This Inner Loop Header: Depth=3
	s_delay_alu instid0(VALU_DEP_2)
	v_add_nc_u64_e32 v[14:15], v[10:11], v[2:3]
	s_or_b32 s17, s17, exec_lo
	s_or_b32 s18, s18, exec_lo
	s_mov_b32 s19, exec_lo
	s_clause 0x1
	flat_load_b32 v13, v[10:11]
	flat_load_b32 v16, v[14:15]
	s_wait_loadcnt_dscnt 0x0
	v_cmpx_eq_u32_e64 v13, v16
	s_cbranch_execz .LBB3_272
; %bb.274:                              ;   in Loop: Header=BB3_273 Depth=3
	v_add_nc_u32_e32 v12, -1, v12
	v_add_nc_u64_e32 v[10:11], 4, v[10:11]
	s_and_not1_b32 s18, s18, exec_lo
	s_and_not1_b32 s17, s17, exec_lo
	s_delay_alu instid0(VALU_DEP_2) | instskip(SKIP_1) | instid1(SALU_CYCLE_1)
	v_cmp_eq_u32_e64 s0, 0, v12
	s_and_b32 s0, s0, exec_lo
	s_or_b32 s18, s18, s0
	s_branch .LBB3_272
.LBB3_275:                              ;   in Loop: Header=BB3_270 Depth=2
	s_or_b32 exec_lo, exec_lo, s15
	s_delay_alu instid0(SALU_CYCLE_1)
	s_or_not1_b32 s0, s16, exec_lo
.LBB3_276:                              ;   in Loop: Header=BB3_270 Depth=2
	s_or_b32 exec_lo, exec_lo, s14
	s_mov_b32 s14, -1
	s_and_saveexec_b32 s15, s0
	s_cbranch_execz .LBB3_269
; %bb.277:                              ;   in Loop: Header=BB3_270 Depth=2
	v_add_nc_u32_e32 v1, v1, v0
	v_add_nc_u64_e32 v[8:9], v[8:9], v[6:7]
	s_xor_b32 s14, exec_lo, -1
	s_delay_alu instid0(VALU_DEP_2)
	v_cmp_ge_i32_e64 s0, v1, v74
	s_or_not1_b32 s13, s0, exec_lo
	s_branch .LBB3_269
.LBB3_278:                              ;   in Loop: Header=BB3_160 Depth=1
	s_or_b32 exec_lo, exec_lo, s11
	s_delay_alu instid0(SALU_CYCLE_1)
	s_or_not1_b32 s0, s12, exec_lo
.LBB3_279:                              ;   in Loop: Header=BB3_160 Depth=1
	s_or_b32 exec_lo, exec_lo, s10
	v_mov_b32_e32 v55, v4
	s_and_not1_b32 s6, s6, exec_lo
	s_and_b32 s0, s0, exec_lo
	s_and_not1_b32 s5, s5, exec_lo
	s_or_b32 s6, s6, s0
	s_or_b32 exec_lo, exec_lo, s7
	s_and_saveexec_b32 s0, s5
	s_delay_alu instid0(SALU_CYCLE_1)
	s_xor_b32 s0, exec_lo, s0
	s_cbranch_execz .LBB3_287
.LBB3_280:                              ;   in Loop: Header=BB3_160 Depth=1
	s_mov_b32 s7, -1
	s_and_saveexec_b32 s5, s68
	s_cbranch_execz .LBB3_286
; %bb.281:                              ;   in Loop: Header=BB3_160 Depth=1
	v_mov_b64_e32 v[0:1], v[44:45]
	v_mov_b32_e32 v2, v74
	s_mov_b32 s7, 0
                                        ; implicit-def: $sgpr10
                                        ; implicit-def: $sgpr12
                                        ; implicit-def: $sgpr11
	s_branch .LBB3_283
.LBB3_282:                              ;   in Loop: Header=BB3_283 Depth=2
	s_or_b32 exec_lo, exec_lo, s13
	s_xor_b32 s13, s11, -1
	s_and_b32 s14, exec_lo, s12
	s_delay_alu instid0(SALU_CYCLE_1) | instskip(SKIP_2) | instid1(SALU_CYCLE_1)
	s_or_b32 s7, s14, s7
	s_and_not1_b32 s10, s10, exec_lo
	s_and_b32 s13, s13, exec_lo
	s_or_b32 s10, s10, s13
	s_and_not1_b32 exec_lo, exec_lo, s7
	s_cbranch_execz .LBB3_285
.LBB3_283:                              ;   Parent Loop BB3_160 Depth=1
                                        ; =>  This Inner Loop Header: Depth=2
	flat_load_b32 v3, v[0:1]
	s_or_b32 s11, s11, exec_lo
	s_or_b32 s12, s12, exec_lo
	s_mov_b32 s13, exec_lo
	s_wait_loadcnt_dscnt 0x0
	v_lshrrev_b32_e32 v5, 1, v3
	s_delay_alu instid0(VALU_DEP_1) | instskip(SKIP_1) | instid1(VALU_DEP_1)
	v_bitop3_b32 v3, v5, 0x55555555, v3 bitop3:0x48
	s_wait_xcnt 0x0
	v_cmpx_eq_u32_e32 0, v3
	s_cbranch_execz .LBB3_282
; %bb.284:                              ;   in Loop: Header=BB3_283 Depth=2
	v_add_nc_u32_e32 v2, -1, v2
	v_add_nc_u64_e32 v[0:1], 4, v[0:1]
	s_and_not1_b32 s12, s12, exec_lo
	s_and_not1_b32 s11, s11, exec_lo
	s_delay_alu instid0(VALU_DEP_2) | instskip(SKIP_1) | instid1(SALU_CYCLE_1)
	v_cmp_eq_u32_e32 vcc_lo, 0, v2
	s_and_b32 s14, vcc_lo, exec_lo
	s_or_b32 s12, s12, s14
	s_branch .LBB3_282
.LBB3_285:                              ;   in Loop: Header=BB3_160 Depth=1
	s_or_b32 exec_lo, exec_lo, s7
	s_delay_alu instid0(SALU_CYCLE_1)
	s_or_not1_b32 s7, s10, exec_lo
.LBB3_286:                              ;   in Loop: Header=BB3_160 Depth=1
	s_or_b32 exec_lo, exec_lo, s5
	s_delay_alu instid0(SALU_CYCLE_1)
	s_and_not1_b32 s5, s6, exec_lo
	s_and_b32 s6, s7, exec_lo
	v_mov_b32_e32 v55, 1
	s_or_b32 s6, s5, s6
.LBB3_287:                              ;   in Loop: Header=BB3_160 Depth=1
	s_or_b32 exec_lo, exec_lo, s0
	s_mov_b32 s0, -1
	s_mov_b32 s5, -1
	s_and_saveexec_b32 s7, s6
	s_cbranch_execz .LBB3_158
; %bb.288:                              ;   in Loop: Header=BB3_160 Depth=1
	v_cmp_gt_i32_e32 vcc_lo, 2, v4
	s_xor_b32 s5, exec_lo, -1
	s_or_not1_b32 s0, vcc_lo, exec_lo
	s_branch .LBB3_158
.LBB3_289:
	s_or_b32 exec_lo, exec_lo, s2
	s_delay_alu instid0(SALU_CYCLE_1)
	s_mov_b32 s17, exec_lo
	s_or_not1_b32 s0, s3, exec_lo
	s_or_b32 exec_lo, exec_lo, s1
	s_mov_b32 s69, s51
	s_and_saveexec_b32 s20, s0
	s_cbranch_execz .LBB3_156
.LBB3_290:
	s_get_pc_i64 s[0:1]
	s_add_nc_u64 s[0:1], s[0:1], .str.21@rel64+4
	s_get_pc_i64 s[2:3]
	s_add_nc_u64 s[2:3], s[2:3], .str.16@rel64+4
	s_get_pc_i64 s[4:5]
	s_add_nc_u64 s[4:5], s[4:5], __PRETTY_FUNCTION__._ZN3sop13minatoIsopRecEPKjS1_iPNS_3SopEP7VecsMemIjLi8192EE@rel64+4
	v_dual_mov_b32 v0, s0 :: v_dual_mov_b32 v1, s1
	v_dual_mov_b32 v2, s2 :: v_dual_mov_b32 v3, s3
	;; [unrolled: 1-line block ×3, first 2 shown]
	v_mov_b32_e32 v4, 0x76
	v_mov_b32_e32 v6, s5
	s_get_pc_i64 s[6:7]
	s_add_nc_u64 s[6:7], s[6:7], __assert_fail@rel64+4
	s_mov_b64 s[18:19], s[8:9]
	s_swap_pc_i64 s[30:31], s[6:7]
	v_mov_b32_e32 v4, v64
	s_mov_b64 s[8:9], s[18:19]
	s_or_b32 s69, s51, exec_lo
	s_and_not1_b32 s17, s17, exec_lo
	s_or_b32 exec_lo, exec_lo, s20
	s_mov_b32 s0, 0
	s_and_saveexec_b32 s70, s17
	s_cbranch_execz .LBB3_498
.LBB3_291:
	s_mov_b32 s71, 0
	s_mov_b32 s80, s69
	s_mov_b32 s0, exec_lo
	v_cmpx_lt_i32_e32 5, v55
	s_xor_b32 s37, exec_lo, s0
	s_cbranch_execz .LBB3_488
; %bb.292:
	v_add_nc_u32_e32 v61, -6, v55
	s_delay_alu instid0(VALU_DEP_1) | instskip(NEXT) | instid1(VALU_DEP_1)
	v_lshlrev_b32_e64 v76, v61, 1
	v_ashrrev_i32_e32 v77, 31, v76
	v_cmp_ne_u32_e64 s36, 31, v61
	s_and_saveexec_b32 s0, s36
	s_cbranch_execz .LBB3_295
; %bb.293:
	v_dual_mov_b32 v1, 0 :: v_dual_add_nc_u32 v0, -1, v76
	v_add_nc_u32_e32 v5, 1, v76
	s_mov_b32 s1, 0
	s_delay_alu instid0(VALU_DEP_2) | instskip(NEXT) | instid1(VALU_DEP_1)
	v_lshlrev_b64_e32 v[6:7], 2, v[0:1]
	v_lshl_add_u64 v[2:3], v[76:77], 2, v[6:7]
	v_add_nc_u64_e32 v[0:1], v[42:43], v[6:7]
	v_add_nc_u64_e32 v[6:7], v[46:47], v[6:7]
	s_delay_alu instid0(VALU_DEP_3)
	v_add_nc_u64_e32 v[2:3], v[44:45], v[2:3]
.LBB3_294:                              ; =>This Inner Loop Header: Depth=1
	flat_load_b32 v8, v[6:7]
	flat_load_b32 v9, v[2:3]
	v_add_nc_u32_e32 v5, -1, v5
	s_wait_xcnt 0x0
	v_add_nc_u64_e32 v[2:3], -4, v[2:3]
	v_add_nc_u64_e32 v[6:7], -4, v[6:7]
	s_delay_alu instid0(VALU_DEP_3)
	v_cmp_gt_u32_e32 vcc_lo, 2, v5
	s_or_b32 s1, vcc_lo, s1
	s_wait_loadcnt_dscnt 0x0
	v_bitop3_b32 v8, v8, v9, v8 bitop3:0x30
	flat_store_b32 v[0:1], v8
	s_wait_xcnt 0x0
	v_add_nc_u64_e32 v[0:1], -4, v[0:1]
	s_and_not1_b32 exec_lo, exec_lo, s1
	s_cbranch_execnz .LBB3_294
.LBB3_295:
	s_or_b32 exec_lo, exec_lo, s0
	v_mbcnt_lo_u32_b32 v75, -1, 0
	s_add_co_i32 s0, s33, 0x68
	v_dual_mov_b32 v0, v42 :: v_dual_mov_b32 v1, v43
	s_delay_alu instid0(VALU_DEP_2) | instskip(SKIP_2) | instid1(VALU_DEP_3)
	v_dual_mov_b32 v78, s0 :: v_dual_lshlrev_b32 v79, 20, v75
	v_dual_mov_b32 v2, v44 :: v_dual_mov_b32 v3, v45
	v_dual_mov_b32 v60, v4 :: v_dual_mov_b32 v7, v62
	v_add_nc_u64_e32 v[8:9], src_flat_scratch_base_lo, v[78:79]
	s_get_pc_i64 s[38:39]
	s_add_nc_u64 s[38:39], s[38:39], _ZN3sop13minatoIsopRecEPKjS1_iPNS_3SopEP7VecsMemIjLi8192EE@rel64+4
	s_mov_b32 s48, 0
	s_mov_b64 s[34:35], s[8:9]
	s_delay_alu instid0(VALU_DEP_1)
	v_dual_mov_b32 v5, v8 :: v_dual_mov_b32 v6, v9
	v_mov_b32_e32 v8, v63
	s_swap_pc_i64 s[30:31], s[38:39]
	v_dual_mov_b32 v56, v0 :: v_dual_mov_b32 v57, v1
	s_and_saveexec_b32 s0, s36
	s_cbranch_execz .LBB3_298
; %bb.296:
	v_dual_mov_b32 v1, 0 :: v_dual_add_nc_u32 v0, -1, v76
	v_add_nc_u32_e32 v6, 1, v76
	s_delay_alu instid0(VALU_DEP_2) | instskip(NEXT) | instid1(VALU_DEP_1)
	v_lshlrev_b64_e32 v[0:1], 2, v[0:1]
	v_lshl_add_u64 v[4:5], v[76:77], 2, v[0:1]
	v_add_nc_u64_e32 v[0:1], v[44:45], v[0:1]
	s_delay_alu instid0(VALU_DEP_2)
	v_add_nc_u64_e32 v[2:3], v[42:43], v[4:5]
	v_add_nc_u64_e32 v[4:5], v[46:47], v[4:5]
.LBB3_297:                              ; =>This Inner Loop Header: Depth=1
	flat_load_b32 v7, v[4:5]
	flat_load_b32 v8, v[0:1]
	v_add_nc_u32_e32 v6, -1, v6
	s_wait_xcnt 0x0
	v_add_nc_u64_e32 v[0:1], -4, v[0:1]
	v_add_nc_u64_e32 v[4:5], -4, v[4:5]
	s_delay_alu instid0(VALU_DEP_3)
	v_cmp_gt_u32_e32 vcc_lo, 2, v6
	s_or_b32 s48, vcc_lo, s48
	s_wait_loadcnt_dscnt 0x0
	v_bitop3_b32 v7, v7, v8, v7 bitop3:0x30
	flat_store_b32 v[2:3], v7
	s_wait_xcnt 0x0
	v_add_nc_u64_e32 v[2:3], -4, v[2:3]
	s_and_not1_b32 exec_lo, exec_lo, s48
	s_cbranch_execnz .LBB3_297
.LBB3_298:
	s_or_b32 exec_lo, exec_lo, s0
	v_lshlrev_b64_e32 v[88:89], 2, v[76:77]
	s_add_co_i32 s0, s33, 0x78
	s_delay_alu instid0(SALU_CYCLE_1) | instskip(SKIP_3) | instid1(VALU_DEP_3)
	v_dual_mov_b32 v4, v60 :: v_dual_mov_b32 v78, s0
	s_mov_b64 s[8:9], s[34:35]
	s_mov_b32 s48, 0
	v_mov_b32_e32 v8, v63
	v_add_nc_u64_e32 v[40:41], v[42:43], v[88:89]
	v_add_nc_u64_e32 v[0:1], src_flat_scratch_base_lo, v[78:79]
	v_add_nc_u64_e32 v[2:3], v[44:45], v[88:89]
	s_delay_alu instid0(VALU_DEP_2) | instskip(NEXT) | instid1(VALU_DEP_3)
	v_dual_mov_b32 v7, v62 :: v_dual_mov_b32 v5, v0
	v_dual_mov_b32 v6, v1 :: v_dual_mov_b32 v0, v40
	v_mov_b32_e32 v1, v41
	s_swap_pc_i64 s[30:31], s[38:39]
	s_delay_alu instid0(VALU_DEP_1)
	v_dual_mov_b32 v58, v0 :: v_dual_mov_b32 v59, v1
	s_and_saveexec_b32 s0, s36
	s_cbranch_execz .LBB3_307
; %bb.299:
	v_dual_mov_b32 v1, 0 :: v_dual_add_nc_u32 v0, -1, v76
	v_add_nc_u32_e32 v12, 1, v76
	s_delay_alu instid0(VALU_DEP_2) | instskip(NEXT) | instid1(VALU_DEP_2)
	v_lshlrev_b64_e32 v[0:1], 2, v[0:1]
	v_mov_b32_e32 v10, v12
	s_delay_alu instid0(VALU_DEP_2) | instskip(SKIP_2) | instid1(VALU_DEP_3)
	v_add_nc_u64_e32 v[2:3], v[42:43], v[0:1]
	v_add_nc_u64_e32 v[4:5], v[56:57], v[0:1]
	;; [unrolled: 1-line block ×3, first 2 shown]
	v_mov_b64_e32 v[8:9], v[2:3]
.LBB3_300:                              ; =>This Inner Loop Header: Depth=1
	flat_load_b32 v11, v[6:7]
	flat_load_b32 v13, v[4:5]
	v_add_nc_u32_e32 v10, -1, v10
	s_wait_xcnt 0x0
	v_add_nc_u64_e32 v[4:5], -4, v[4:5]
	v_add_nc_u64_e32 v[6:7], -4, v[6:7]
	s_delay_alu instid0(VALU_DEP_3)
	v_cmp_gt_u32_e32 vcc_lo, 2, v10
	s_or_b32 s48, vcc_lo, s48
	s_wait_loadcnt_dscnt 0x0
	v_bitop3_b32 v11, v11, v13, v11 bitop3:0x30
	flat_store_b32 v[8:9], v11
	s_wait_xcnt 0x0
	v_add_nc_u64_e32 v[8:9], -4, v[8:9]
	s_and_not1_b32 exec_lo, exec_lo, s48
	s_cbranch_execnz .LBB3_300
; %bb.301:
	s_or_b32 exec_lo, exec_lo, s48
	v_add_nc_u64_e32 v[8:9], v[88:89], v[0:1]
	v_add_nc_u64_e32 v[6:7], v[58:59], v[0:1]
	v_mov_b32_e32 v13, v12
	s_mov_b32 s1, 0
	s_delay_alu instid0(VALU_DEP_3) | instskip(SKIP_1) | instid1(VALU_DEP_2)
	v_add_nc_u64_e32 v[4:5], v[42:43], v[8:9]
	v_add_nc_u64_e32 v[8:9], v[46:47], v[8:9]
	v_mov_b64_e32 v[10:11], v[4:5]
.LBB3_302:                              ; =>This Inner Loop Header: Depth=1
	flat_load_b32 v14, v[8:9]
	flat_load_b32 v15, v[6:7]
	v_add_nc_u32_e32 v13, -1, v13
	s_wait_xcnt 0x0
	v_add_nc_u64_e32 v[6:7], -4, v[6:7]
	v_add_nc_u64_e32 v[8:9], -4, v[8:9]
	s_delay_alu instid0(VALU_DEP_3)
	v_cmp_gt_u32_e32 vcc_lo, 2, v13
	s_or_b32 s1, vcc_lo, s1
	s_wait_loadcnt_dscnt 0x0
	v_bitop3_b32 v14, v14, v15, v14 bitop3:0x30
	flat_store_b32 v[10:11], v14
	s_wait_xcnt 0x0
	v_add_nc_u64_e32 v[10:11], -4, v[10:11]
	s_and_not1_b32 exec_lo, exec_lo, s1
	s_cbranch_execnz .LBB3_302
; %bb.303:
	s_or_b32 exec_lo, exec_lo, s1
	v_mov_b32_e32 v6, v12
	s_mov_b32 s1, 0
.LBB3_304:                              ; =>This Inner Loop Header: Depth=1
	s_delay_alu instid0(VALU_DEP_1)
	v_add_nc_u64_e32 v[8:9], v[2:3], v[88:89]
	s_clause 0x1
	flat_load_b32 v7, v[2:3]
	flat_load_b32 v10, v[8:9]
	s_wait_loadcnt_dscnt 0x0
	v_dual_add_nc_u32 v6, -1, v6 :: v_dual_bitop2_b32 v7, v10, v7 bitop3:0x54
	s_delay_alu instid0(VALU_DEP_1) | instskip(SKIP_4) | instid1(SALU_CYCLE_1)
	v_cmp_gt_u32_e32 vcc_lo, 2, v6
	flat_store_b32 v[2:3], v7
	s_wait_xcnt 0x0
	v_add_nc_u64_e32 v[2:3], -4, v[2:3]
	s_or_b32 s1, vcc_lo, s1
	s_and_not1_b32 exec_lo, exec_lo, s1
	s_cbranch_execnz .LBB3_304
; %bb.305:
	s_or_b32 exec_lo, exec_lo, s1
	v_add_nc_u64_e32 v[0:1], v[44:45], v[0:1]
	s_mov_b32 s1, 0
.LBB3_306:                              ; =>This Inner Loop Header: Depth=1
	s_delay_alu instid0(VALU_DEP_1)
	v_add_nc_u64_e32 v[2:3], v[0:1], v[88:89]
	s_clause 0x1
	flat_load_b32 v6, v[0:1]
	flat_load_b32 v7, v[2:3]
	v_add_nc_u32_e32 v12, -1, v12
	s_wait_xcnt 0x1
	v_add_nc_u64_e32 v[0:1], -4, v[0:1]
	s_wait_loadcnt_dscnt 0x0
	v_and_b32_e32 v2, v7, v6
	v_cmp_gt_u32_e32 vcc_lo, 2, v12
	flat_store_b32 v[4:5], v2
	s_wait_xcnt 0x0
	v_add_nc_u64_e32 v[4:5], -4, v[4:5]
	s_or_b32 s1, vcc_lo, s1
	s_delay_alu instid0(SALU_CYCLE_1)
	s_and_not1_b32 exec_lo, exec_lo, s1
	s_cbranch_execnz .LBB3_306
.LBB3_307:
	s_or_b32 exec_lo, exec_lo, s0
	s_add_co_i32 s0, s33, 0x88
	v_dual_mov_b32 v1, v43 :: v_dual_mov_b32 v2, v40
	v_dual_mov_b32 v78, s0 :: v_dual_mov_b32 v0, v42
	;; [unrolled: 1-line block ×3, first 2 shown]
	s_mov_b64 s[8:9], s[34:35]
	s_delay_alu instid0(VALU_DEP_2) | instskip(SKIP_2) | instid1(VALU_DEP_2)
	v_add_nc_u64_e32 v[8:9], src_flat_scratch_base_lo, v[78:79]
	v_mov_b32_e32 v7, v62
	s_mov_b32 s48, 0
	v_dual_mov_b32 v5, v8 :: v_dual_mov_b32 v6, v9
	v_mov_b32_e32 v8, v63
	s_swap_pc_i64 s[30:31], s[38:39]
	s_clause 0x2
	scratch_load_b64 v[80:81], off, s33 offset:104
	scratch_load_b64 v[68:69], off, s33 offset:120
	;; [unrolled: 1-line block ×3, first 2 shown]
	v_dual_mov_b32 v64, v0 :: v_dual_mov_b32 v65, v1
	v_mov_b64_e32 v[70:71], 0
	s_mov_b32 s0, -1
	s_mov_b32 s19, s69
	s_mov_b32 s17, exec_lo
	s_wait_loadcnt 0x1
	v_add_nc_u32_e32 v0, v69, v81
	s_wait_loadcnt 0x0
	s_delay_alu instid0(VALU_DEP_1) | instskip(NEXT) | instid1(VALU_DEP_1)
	v_dual_add_nc_u32 v2, v0, v80 :: v_dual_add_nc_u32 v1, v0, v67
	v_add3_u32 v0, v2, v68, v66
	flat_store_b64 v[72:73], v[0:1]
	s_wait_xcnt 0x0
	v_cmpx_lt_i32_e32 0, v1
	s_cbranch_execz .LBB3_454
; %bb.308:
	flat_load_b32 v0, v[62:63]
	v_mov_b64_e32 v[70:71], 0
	s_mov_b32 s18, 0
	s_mov_b32 s0, exec_lo
	s_wait_loadcnt_dscnt 0x0
	v_add_nc_u32_e32 v0, v0, v1
	s_wait_xcnt 0x0
	s_delay_alu instid0(VALU_DEP_1)
	v_cmpx_gt_i32_e32 0x2001, v0
	s_xor_b32 s0, exec_lo, s0
	s_cbranch_execz .LBB3_310
; %bb.309:
	v_dual_mov_b32 v3, 0 :: v_dual_mov_b32 v2, v1
	v_ashrrev_i32_e32 v1, 31, v0
	s_mov_b32 s18, exec_lo
	flat_store_b32 v[62:63], v0
                                        ; implicit-def: $vgpr75
	v_lshlrev_b64_e32 v[2:3], 2, v[2:3]
	v_lshl_add_u64 v[4:5], v[0:1], 2, v[62:63]
	s_delay_alu instid0(VALU_DEP_1) | instskip(NEXT) | instid1(VALU_DEP_1)
	v_sub_nc_u64_e32 v[2:3], v[4:5], v[2:3]
	v_add_nc_u64_e32 v[70:71], 4, v[2:3]
.LBB3_310:
	s_wait_xcnt 0x0
	s_or_saveexec_b32 s19, s0
	s_mov_b32 s0, s69
	s_xor_b32 exec_lo, exec_lo, s19
	s_cbranch_execz .LBB3_453
; %bb.311:
	s_load_b64 s[2:3], s[34:35], 0x50
	v_readfirstlane_b32 s0, v75
	v_mov_b64_e32 v[2:3], 0
	s_mov_b64 s[8:9], s[34:35]
	v_cmp_eq_u32_e64 s0, s0, v75
	s_and_saveexec_b32 s1, s0
	s_cbranch_execz .LBB3_317
; %bb.312:
	v_mov_b32_e32 v0, 0
	s_mov_b32 s4, exec_lo
	s_wait_kmcnt 0x0
	global_load_b64 v[4:5], v0, s[2:3] offset:24 scope:SCOPE_SYS
	s_wait_loadcnt 0x0
	global_inv scope:SCOPE_SYS
	s_clause 0x1
	global_load_b64 v[2:3], v0, s[2:3] offset:40
	global_load_b64 v[6:7], v0, s[2:3]
	s_wait_loadcnt 0x1
	v_and_b32_e32 v2, v2, v4
	v_and_b32_e32 v3, v3, v5
	s_delay_alu instid0(VALU_DEP_1) | instskip(SKIP_1) | instid1(VALU_DEP_1)
	v_mul_u64_e32 v[2:3], 24, v[2:3]
	s_wait_loadcnt 0x0
	v_add_nc_u64_e32 v[2:3], v[6:7], v[2:3]
	global_load_b64 v[2:3], v[2:3], off scope:SCOPE_SYS
	s_wait_xcnt 0x0
	s_wait_loadcnt 0x0
	global_atomic_cmpswap_b64 v[2:3], v0, v[2:5], s[2:3] offset:24 th:TH_ATOMIC_RETURN scope:SCOPE_SYS
	s_wait_loadcnt 0x0
	global_inv scope:SCOPE_SYS
	s_wait_xcnt 0x0
	v_cmpx_ne_u64_e64 v[2:3], v[4:5]
	s_cbranch_execz .LBB3_316
; %bb.313:
	s_mov_b32 s5, 0
.LBB3_314:                              ; =>This Inner Loop Header: Depth=1
	s_sleep 1
	s_clause 0x1
	global_load_b64 v[6:7], v0, s[2:3] offset:40
	global_load_b64 v[8:9], v0, s[2:3]
	v_mov_b64_e32 v[4:5], v[2:3]
	s_wait_loadcnt 0x1
	s_delay_alu instid0(VALU_DEP_1) | instskip(SKIP_1) | instid1(VALU_DEP_1)
	v_and_b32_e32 v1, v6, v4
	s_wait_loadcnt 0x0
	v_mad_nc_u64_u32 v[2:3], v1, 24, v[8:9]
	s_delay_alu instid0(VALU_DEP_3) | instskip(NEXT) | instid1(VALU_DEP_1)
	v_and_b32_e32 v1, v7, v5
	v_mad_u32 v3, v1, 24, v3
	global_load_b64 v[2:3], v[2:3], off scope:SCOPE_SYS
	s_wait_xcnt 0x0
	s_wait_loadcnt 0x0
	global_atomic_cmpswap_b64 v[2:3], v0, v[2:5], s[2:3] offset:24 th:TH_ATOMIC_RETURN scope:SCOPE_SYS
	s_wait_loadcnt 0x0
	global_inv scope:SCOPE_SYS
	v_cmp_eq_u64_e32 vcc_lo, v[2:3], v[4:5]
	s_or_b32 s5, vcc_lo, s5
	s_wait_xcnt 0x0
	s_and_not1_b32 exec_lo, exec_lo, s5
	s_cbranch_execnz .LBB3_314
; %bb.315:
	s_or_b32 exec_lo, exec_lo, s5
.LBB3_316:
	s_delay_alu instid0(SALU_CYCLE_1)
	s_or_b32 exec_lo, exec_lo, s4
.LBB3_317:
	s_delay_alu instid0(SALU_CYCLE_1)
	s_or_b32 exec_lo, exec_lo, s1
	v_readfirstlane_b32 s4, v2
	v_mov_b32_e32 v1, 0
	v_readfirstlane_b32 s5, v3
	s_mov_b32 s1, exec_lo
	s_wait_kmcnt 0x0
	s_clause 0x1
	global_load_b64 v[8:9], v1, s[2:3] offset:40
	global_load_b128 v[4:7], v1, s[2:3]
	s_wait_loadcnt 0x1
	v_and_b32_e32 v10, s4, v8
	v_and_b32_e32 v11, s5, v9
	s_delay_alu instid0(VALU_DEP_1) | instskip(SKIP_1) | instid1(VALU_DEP_1)
	v_mul_u64_e32 v[2:3], 24, v[10:11]
	s_wait_loadcnt 0x0
	v_add_nc_u64_e32 v[8:9], v[4:5], v[2:3]
	s_wait_xcnt 0x0
	s_and_saveexec_b32 s6, s0
	s_cbranch_execz .LBB3_319
; %bb.318:
	v_mov_b64_e32 v[2:3], 0x100000002
	v_mov_b32_e32 v0, s1
	global_store_b128 v[8:9], v[0:3], off offset:8
.LBB3_319:
	s_wait_xcnt 0x0
	s_or_b32 exec_lo, exec_lo, s6
	v_lshlrev_b64_e32 v[2:3], 12, v[10:11]
	s_mov_b32 s12, 0
	v_dual_lshlrev_b32 v0, 6, v75 :: v_dual_mov_b32 v10, 33
	s_mov_b32 s14, s12
	s_mov_b32 s15, s12
	;; [unrolled: 1-line block ×3, first 2 shown]
	s_delay_alu instid0(VALU_DEP_2)
	v_add_nc_u64_e32 v[6:7], v[6:7], v[2:3]
	v_mov_b64_e32 v[16:17], s[14:15]
	v_mov_b64_e32 v[14:15], s[12:13]
	v_dual_mov_b32 v11, v1 :: v_dual_mov_b32 v12, v1
	v_mov_b32_e32 v13, v1
	v_readfirstlane_b32 s6, v6
	v_readfirstlane_b32 s7, v7
	s_clause 0x3
	global_store_b128 v0, v[10:13], s[6:7]
	global_store_b128 v0, v[14:17], s[6:7] offset:16
	global_store_b128 v0, v[14:17], s[6:7] offset:32
	;; [unrolled: 1-line block ×3, first 2 shown]
	s_wait_xcnt 0x0
	s_and_saveexec_b32 s1, s0
	s_cbranch_execz .LBB3_327
; %bb.320:
	v_dual_mov_b32 v12, 0 :: v_dual_mov_b32 v15, s5
	s_mov_b32 s6, exec_lo
	s_clause 0x1
	global_load_b64 v[16:17], v12, s[2:3] offset:32 scope:SCOPE_SYS
	global_load_b64 v[2:3], v12, s[2:3] offset:40
	s_wait_loadcnt 0x0
	v_dual_mov_b32 v14, s4 :: v_dual_bitop2_b32 v3, s5, v3 bitop3:0x40
	v_and_b32_e32 v2, s4, v2
	s_delay_alu instid0(VALU_DEP_1) | instskip(NEXT) | instid1(VALU_DEP_1)
	v_mul_u64_e32 v[2:3], 24, v[2:3]
	v_add_nc_u64_e32 v[10:11], v[4:5], v[2:3]
	global_store_b64 v[10:11], v[16:17], off
	global_wb scope:SCOPE_SYS
	s_wait_storecnt 0x0
	s_wait_xcnt 0x0
	global_atomic_cmpswap_b64 v[4:5], v12, v[14:17], s[2:3] offset:32 th:TH_ATOMIC_RETURN scope:SCOPE_SYS
	s_wait_loadcnt 0x0
	v_cmpx_ne_u64_e64 v[4:5], v[16:17]
	s_cbranch_execz .LBB3_323
; %bb.321:
	s_mov_b32 s7, 0
.LBB3_322:                              ; =>This Inner Loop Header: Depth=1
	v_dual_mov_b32 v2, s4 :: v_dual_mov_b32 v3, s5
	s_sleep 1
	global_store_b64 v[10:11], v[4:5], off
	global_wb scope:SCOPE_SYS
	s_wait_storecnt 0x0
	s_wait_xcnt 0x0
	global_atomic_cmpswap_b64 v[2:3], v12, v[2:5], s[2:3] offset:32 th:TH_ATOMIC_RETURN scope:SCOPE_SYS
	s_wait_loadcnt 0x0
	v_cmp_eq_u64_e32 vcc_lo, v[2:3], v[4:5]
	v_mov_b64_e32 v[4:5], v[2:3]
	s_or_b32 s7, vcc_lo, s7
	s_delay_alu instid0(SALU_CYCLE_1)
	s_and_not1_b32 exec_lo, exec_lo, s7
	s_cbranch_execnz .LBB3_322
.LBB3_323:
	s_or_b32 exec_lo, exec_lo, s6
	v_mov_b32_e32 v5, 0
	s_mov_b32 s7, exec_lo
	s_mov_b32 s6, exec_lo
	v_mbcnt_lo_u32_b32 v4, s7, 0
	global_load_b64 v[2:3], v5, s[2:3] offset:16
	s_wait_xcnt 0x0
	v_cmpx_eq_u32_e32 0, v4
	s_cbranch_execz .LBB3_325
; %bb.324:
	s_bcnt1_i32_b32 s7, s7
	s_delay_alu instid0(SALU_CYCLE_1)
	v_mov_b32_e32 v4, s7
	global_wb scope:SCOPE_SYS
	s_wait_loadcnt 0x0
	s_wait_storecnt 0x0
	global_atomic_add_u64 v[2:3], v[4:5], off offset:8 scope:SCOPE_SYS
.LBB3_325:
	s_wait_xcnt 0x0
	s_or_b32 exec_lo, exec_lo, s6
	s_wait_loadcnt 0x0
	global_load_b64 v[4:5], v[2:3], off offset:16
	s_wait_loadcnt 0x0
	v_cmp_eq_u64_e32 vcc_lo, 0, v[4:5]
	s_cbranch_vccnz .LBB3_327
; %bb.326:
	global_load_b32 v2, v[2:3], off offset:24
	s_wait_xcnt 0x0
	v_mov_b32_e32 v3, 0
	s_wait_loadcnt 0x0
	v_readfirstlane_b32 s6, v2
	global_wb scope:SCOPE_SYS
	s_wait_storecnt 0x0
	global_store_b64 v[4:5], v[2:3], off scope:SCOPE_SYS
	s_and_b32 m0, s6, 0xffffff
	s_sendmsg sendmsg(MSG_INTERRUPT)
.LBB3_327:
	s_wait_xcnt 0x0
	s_or_b32 exec_lo, exec_lo, s1
	v_add_nc_u64_e32 v[2:3], v[6:7], v[0:1]
	s_branch .LBB3_331
.LBB3_328:                              ;   in Loop: Header=BB3_331 Depth=1
	s_wait_xcnt 0x0
	s_or_b32 exec_lo, exec_lo, s1
	s_delay_alu instid0(VALU_DEP_1)
	v_readfirstlane_b32 s1, v1
	s_cmp_eq_u32 s1, 0
	s_cbranch_scc1 .LBB3_330
; %bb.329:                              ;   in Loop: Header=BB3_331 Depth=1
	s_sleep 1
	s_cbranch_execnz .LBB3_331
	s_branch .LBB3_333
.LBB3_330:
	s_branch .LBB3_333
.LBB3_331:                              ; =>This Inner Loop Header: Depth=1
	v_mov_b32_e32 v1, 1
	s_and_saveexec_b32 s1, s0
	s_cbranch_execz .LBB3_328
; %bb.332:                              ;   in Loop: Header=BB3_331 Depth=1
	global_load_b32 v1, v[8:9], off offset:20 scope:SCOPE_SYS
	s_wait_loadcnt 0x0
	global_inv scope:SCOPE_SYS
	v_and_b32_e32 v1, 1, v1
	s_branch .LBB3_328
.LBB3_333:
	global_load_b64 v[2:3], v[2:3], off
	s_wait_xcnt 0x0
	s_and_saveexec_b32 s6, s0
	s_cbranch_execz .LBB3_337
; %bb.334:
	v_mov_b32_e32 v1, 0
	s_clause 0x2
	global_load_b64 v[4:5], v1, s[2:3] offset:40
	global_load_b64 v[12:13], v1, s[2:3] offset:24 scope:SCOPE_SYS
	global_load_b64 v[6:7], v1, s[2:3]
	s_wait_loadcnt 0x2
	v_readfirstlane_b32 s10, v4
	v_readfirstlane_b32 s11, v5
	s_add_nc_u64 s[0:1], s[10:11], 1
	s_delay_alu instid0(SALU_CYCLE_1) | instskip(NEXT) | instid1(SALU_CYCLE_1)
	s_add_nc_u64 s[4:5], s[0:1], s[4:5]
	s_cmp_eq_u64 s[4:5], 0
	s_cselect_b32 s1, s1, s5
	s_cselect_b32 s0, s0, s4
	v_mov_b32_e32 v11, s1
	s_and_b64 s[4:5], s[0:1], s[10:11]
	v_mov_b32_e32 v10, s0
	s_mul_u64 s[4:5], s[4:5], 24
	s_wait_loadcnt 0x0
	v_add_nc_u64_e32 v[8:9], s[4:5], v[6:7]
	global_store_b64 v[8:9], v[12:13], off
	global_wb scope:SCOPE_SYS
	s_wait_storecnt 0x0
	s_wait_xcnt 0x0
	global_atomic_cmpswap_b64 v[6:7], v1, v[10:13], s[2:3] offset:24 th:TH_ATOMIC_RETURN scope:SCOPE_SYS
	s_wait_loadcnt 0x0
	v_cmp_ne_u64_e32 vcc_lo, v[6:7], v[12:13]
	s_and_b32 exec_lo, exec_lo, vcc_lo
	s_cbranch_execz .LBB3_337
; %bb.335:
	s_mov_b32 s4, 0
.LBB3_336:                              ; =>This Inner Loop Header: Depth=1
	v_dual_mov_b32 v4, s0 :: v_dual_mov_b32 v5, s1
	s_sleep 1
	global_store_b64 v[8:9], v[6:7], off
	global_wb scope:SCOPE_SYS
	s_wait_storecnt 0x0
	s_wait_xcnt 0x0
	global_atomic_cmpswap_b64 v[4:5], v1, v[4:7], s[2:3] offset:24 th:TH_ATOMIC_RETURN scope:SCOPE_SYS
	s_wait_loadcnt 0x0
	v_cmp_eq_u64_e32 vcc_lo, v[4:5], v[6:7]
	v_mov_b64_e32 v[6:7], v[4:5]
	s_or_b32 s4, vcc_lo, s4
	s_delay_alu instid0(SALU_CYCLE_1)
	s_and_not1_b32 exec_lo, exec_lo, s4
	s_cbranch_execnz .LBB3_336
.LBB3_337:
	s_or_b32 exec_lo, exec_lo, s6
	s_get_pc_i64 s[4:5]
	s_add_nc_u64 s[4:5], s[4:5], .str.28@rel64+4
	s_delay_alu instid0(SALU_CYCLE_1)
	s_cmp_lg_u64 s[4:5], 0
	s_cbranch_scc0 .LBB3_423
; %bb.338:
	v_mov_b64_e32 v[6:7], 0x100000002
	s_wait_loadcnt 0x0
	v_dual_mov_b32 v9, v3 :: v_dual_bitop2_b32 v8, -3, v2 bitop3:0x40
	v_mov_b32_e32 v5, 0
	s_mov_b64 s[6:7], 35
	s_branch .LBB3_340
.LBB3_339:                              ;   in Loop: Header=BB3_340 Depth=1
	s_or_b32 exec_lo, exec_lo, s14
	s_sub_nc_u64 s[6:7], s[6:7], s[10:11]
	s_add_nc_u64 s[4:5], s[4:5], s[10:11]
	s_cmp_lg_u64 s[6:7], 0
	s_cbranch_scc0 .LBB3_422
.LBB3_340:                              ; =>This Loop Header: Depth=1
                                        ;     Child Loop BB3_343 Depth 2
                                        ;     Child Loop BB3_351 Depth 2
	;; [unrolled: 1-line block ×11, first 2 shown]
	s_wait_loadcnt 0x0
	v_min_u64 v[10:11], s[6:7], 56
	v_cmp_gt_u64_e64 s0, s[6:7], 7
	s_and_b32 vcc_lo, exec_lo, s0
	v_readfirstlane_b32 s10, v10
	v_readfirstlane_b32 s11, v11
	s_cbranch_vccnz .LBB3_345
; %bb.341:                              ;   in Loop: Header=BB3_340 Depth=1
	v_mov_b64_e32 v[10:11], 0
	s_cmp_eq_u64 s[6:7], 0
	s_cbranch_scc1 .LBB3_344
; %bb.342:                              ;   in Loop: Header=BB3_340 Depth=1
	s_mov_b64 s[0:1], 0
	s_mov_b64 s[12:13], 0
.LBB3_343:                              ;   Parent Loop BB3_340 Depth=1
                                        ; =>  This Inner Loop Header: Depth=2
	s_wait_xcnt 0x0
	s_add_nc_u64 s[14:15], s[4:5], s[12:13]
	s_add_nc_u64 s[12:13], s[12:13], 1
	global_load_u8 v1, v5, s[14:15]
	s_cmp_lg_u32 s10, s12
	s_wait_loadcnt 0x0
	v_and_b32_e32 v4, 0xffff, v1
	s_delay_alu instid0(VALU_DEP_1) | instskip(SKIP_1) | instid1(VALU_DEP_1)
	v_lshlrev_b64_e32 v[12:13], s0, v[4:5]
	s_add_nc_u64 s[0:1], s[0:1], 8
	v_or_b32_e32 v10, v12, v10
	s_delay_alu instid0(VALU_DEP_2)
	v_or_b32_e32 v11, v13, v11
	s_cbranch_scc1 .LBB3_343
.LBB3_344:                              ;   in Loop: Header=BB3_340 Depth=1
	s_mov_b32 s0, 0
	s_mov_b64 s[12:13], s[4:5]
	s_branch .LBB3_346
.LBB3_345:                              ;   in Loop: Header=BB3_340 Depth=1
	s_add_nc_u64 s[12:13], s[4:5], 8
	s_mov_b32 s0, -1
.LBB3_346:                              ;   in Loop: Header=BB3_340 Depth=1
	s_delay_alu instid0(SALU_CYCLE_1)
	s_and_not1_b32 vcc_lo, exec_lo, s0
	s_mov_b32 s16, 0
	s_cbranch_vccnz .LBB3_348
; %bb.347:                              ;   in Loop: Header=BB3_340 Depth=1
	global_load_b64 v[10:11], v5, s[4:5]
	s_add_co_i32 s16, s10, -8
.LBB3_348:                              ;   in Loop: Header=BB3_340 Depth=1
	s_delay_alu instid0(SALU_CYCLE_1)
	s_cmp_gt_u32 s16, 7
	s_cbranch_scc1 .LBB3_353
; %bb.349:                              ;   in Loop: Header=BB3_340 Depth=1
	v_mov_b64_e32 v[12:13], 0
	s_cmp_eq_u32 s16, 0
	s_cbranch_scc1 .LBB3_352
; %bb.350:                              ;   in Loop: Header=BB3_340 Depth=1
	s_mov_b64 s[0:1], 0
	s_wait_xcnt 0x0
	s_mov_b64 s[14:15], 0
.LBB3_351:                              ;   Parent Loop BB3_340 Depth=1
                                        ; =>  This Inner Loop Header: Depth=2
	s_wait_xcnt 0x0
	s_add_nc_u64 s[20:21], s[12:13], s[14:15]
	s_add_nc_u64 s[14:15], s[14:15], 1
	global_load_u8 v1, v5, s[20:21]
	s_cmp_lg_u32 s16, s14
	s_wait_loadcnt 0x0
	v_and_b32_e32 v4, 0xffff, v1
	s_delay_alu instid0(VALU_DEP_1) | instskip(SKIP_1) | instid1(VALU_DEP_1)
	v_lshlrev_b64_e32 v[14:15], s0, v[4:5]
	s_add_nc_u64 s[0:1], s[0:1], 8
	v_or_b32_e32 v12, v14, v12
	s_delay_alu instid0(VALU_DEP_2)
	v_or_b32_e32 v13, v15, v13
	s_cbranch_scc1 .LBB3_351
.LBB3_352:                              ;   in Loop: Header=BB3_340 Depth=1
	s_wait_xcnt 0x0
	s_mov_b32 s14, 0
	s_mov_b64 s[0:1], s[12:13]
	s_branch .LBB3_354
.LBB3_353:                              ;   in Loop: Header=BB3_340 Depth=1
	s_add_nc_u64 s[0:1], s[12:13], 8
	s_wait_xcnt 0x0
	s_mov_b32 s14, -1
                                        ; implicit-def: $vgpr12_vgpr13
.LBB3_354:                              ;   in Loop: Header=BB3_340 Depth=1
	s_delay_alu instid0(SALU_CYCLE_1)
	s_and_not1_b32 vcc_lo, exec_lo, s14
	s_mov_b32 s20, 0
	s_cbranch_vccnz .LBB3_356
; %bb.355:                              ;   in Loop: Header=BB3_340 Depth=1
	global_load_b64 v[12:13], v5, s[12:13]
	s_add_co_i32 s20, s16, -8
.LBB3_356:                              ;   in Loop: Header=BB3_340 Depth=1
	s_delay_alu instid0(SALU_CYCLE_1)
	s_cmp_gt_u32 s20, 7
	s_cbranch_scc1 .LBB3_361
; %bb.357:                              ;   in Loop: Header=BB3_340 Depth=1
	v_mov_b64_e32 v[14:15], 0
	s_cmp_eq_u32 s20, 0
	s_cbranch_scc1 .LBB3_360
; %bb.358:                              ;   in Loop: Header=BB3_340 Depth=1
	s_wait_xcnt 0x0
	s_mov_b64 s[12:13], 0
	s_mov_b64 s[14:15], 0
.LBB3_359:                              ;   Parent Loop BB3_340 Depth=1
                                        ; =>  This Inner Loop Header: Depth=2
	s_wait_xcnt 0x0
	s_add_nc_u64 s[22:23], s[0:1], s[14:15]
	s_add_nc_u64 s[14:15], s[14:15], 1
	global_load_u8 v1, v5, s[22:23]
	s_cmp_lg_u32 s20, s14
	s_wait_loadcnt 0x0
	v_and_b32_e32 v4, 0xffff, v1
	s_delay_alu instid0(VALU_DEP_1) | instskip(SKIP_1) | instid1(VALU_DEP_1)
	v_lshlrev_b64_e32 v[16:17], s12, v[4:5]
	s_add_nc_u64 s[12:13], s[12:13], 8
	v_or_b32_e32 v14, v16, v14
	s_delay_alu instid0(VALU_DEP_2)
	v_or_b32_e32 v15, v17, v15
	s_cbranch_scc1 .LBB3_359
.LBB3_360:                              ;   in Loop: Header=BB3_340 Depth=1
	s_mov_b32 s14, 0
	s_wait_xcnt 0x0
	s_mov_b64 s[12:13], s[0:1]
	s_branch .LBB3_362
.LBB3_361:                              ;   in Loop: Header=BB3_340 Depth=1
	s_wait_xcnt 0x0
	s_add_nc_u64 s[12:13], s[0:1], 8
	s_mov_b32 s14, -1
.LBB3_362:                              ;   in Loop: Header=BB3_340 Depth=1
	s_delay_alu instid0(SALU_CYCLE_1)
	s_and_not1_b32 vcc_lo, exec_lo, s14
	s_mov_b32 s16, 0
	s_cbranch_vccnz .LBB3_364
; %bb.363:                              ;   in Loop: Header=BB3_340 Depth=1
	global_load_b64 v[14:15], v5, s[0:1]
	s_add_co_i32 s16, s20, -8
.LBB3_364:                              ;   in Loop: Header=BB3_340 Depth=1
	s_delay_alu instid0(SALU_CYCLE_1)
	s_cmp_gt_u32 s16, 7
	s_cbranch_scc1 .LBB3_369
; %bb.365:                              ;   in Loop: Header=BB3_340 Depth=1
	v_mov_b64_e32 v[16:17], 0
	s_cmp_eq_u32 s16, 0
	s_cbranch_scc1 .LBB3_368
; %bb.366:                              ;   in Loop: Header=BB3_340 Depth=1
	s_wait_xcnt 0x0
	s_mov_b64 s[0:1], 0
	s_mov_b64 s[14:15], 0
.LBB3_367:                              ;   Parent Loop BB3_340 Depth=1
                                        ; =>  This Inner Loop Header: Depth=2
	s_wait_xcnt 0x0
	s_add_nc_u64 s[20:21], s[12:13], s[14:15]
	s_add_nc_u64 s[14:15], s[14:15], 1
	global_load_u8 v1, v5, s[20:21]
	s_cmp_lg_u32 s16, s14
	s_wait_loadcnt 0x0
	v_and_b32_e32 v4, 0xffff, v1
	s_delay_alu instid0(VALU_DEP_1) | instskip(SKIP_1) | instid1(VALU_DEP_1)
	v_lshlrev_b64_e32 v[18:19], s0, v[4:5]
	s_add_nc_u64 s[0:1], s[0:1], 8
	v_or_b32_e32 v16, v18, v16
	s_delay_alu instid0(VALU_DEP_2)
	v_or_b32_e32 v17, v19, v17
	s_cbranch_scc1 .LBB3_367
.LBB3_368:                              ;   in Loop: Header=BB3_340 Depth=1
	s_mov_b32 s14, 0
	s_wait_xcnt 0x0
	s_mov_b64 s[0:1], s[12:13]
	s_branch .LBB3_370
.LBB3_369:                              ;   in Loop: Header=BB3_340 Depth=1
	s_wait_xcnt 0x0
	s_add_nc_u64 s[0:1], s[12:13], 8
	s_mov_b32 s14, -1
                                        ; implicit-def: $vgpr16_vgpr17
.LBB3_370:                              ;   in Loop: Header=BB3_340 Depth=1
	s_delay_alu instid0(SALU_CYCLE_1)
	s_and_not1_b32 vcc_lo, exec_lo, s14
	s_mov_b32 s20, 0
	s_cbranch_vccnz .LBB3_372
; %bb.371:                              ;   in Loop: Header=BB3_340 Depth=1
	global_load_b64 v[16:17], v5, s[12:13]
	s_add_co_i32 s20, s16, -8
.LBB3_372:                              ;   in Loop: Header=BB3_340 Depth=1
	s_delay_alu instid0(SALU_CYCLE_1)
	s_cmp_gt_u32 s20, 7
	s_cbranch_scc1 .LBB3_377
; %bb.373:                              ;   in Loop: Header=BB3_340 Depth=1
	v_mov_b64_e32 v[18:19], 0
	s_cmp_eq_u32 s20, 0
	s_cbranch_scc1 .LBB3_376
; %bb.374:                              ;   in Loop: Header=BB3_340 Depth=1
	s_wait_xcnt 0x0
	s_mov_b64 s[12:13], 0
	s_mov_b64 s[14:15], 0
.LBB3_375:                              ;   Parent Loop BB3_340 Depth=1
                                        ; =>  This Inner Loop Header: Depth=2
	s_wait_xcnt 0x0
	s_add_nc_u64 s[22:23], s[0:1], s[14:15]
	s_add_nc_u64 s[14:15], s[14:15], 1
	global_load_u8 v1, v5, s[22:23]
	s_cmp_lg_u32 s20, s14
	s_wait_loadcnt 0x0
	v_and_b32_e32 v4, 0xffff, v1
	s_delay_alu instid0(VALU_DEP_1) | instskip(SKIP_1) | instid1(VALU_DEP_1)
	v_lshlrev_b64_e32 v[20:21], s12, v[4:5]
	s_add_nc_u64 s[12:13], s[12:13], 8
	v_or_b32_e32 v18, v20, v18
	s_delay_alu instid0(VALU_DEP_2)
	v_or_b32_e32 v19, v21, v19
	s_cbranch_scc1 .LBB3_375
.LBB3_376:                              ;   in Loop: Header=BB3_340 Depth=1
	s_mov_b32 s14, 0
	s_wait_xcnt 0x0
	s_mov_b64 s[12:13], s[0:1]
	s_branch .LBB3_378
.LBB3_377:                              ;   in Loop: Header=BB3_340 Depth=1
	s_wait_xcnt 0x0
	s_add_nc_u64 s[12:13], s[0:1], 8
	s_mov_b32 s14, -1
.LBB3_378:                              ;   in Loop: Header=BB3_340 Depth=1
	s_delay_alu instid0(SALU_CYCLE_1)
	s_and_not1_b32 vcc_lo, exec_lo, s14
	s_mov_b32 s16, 0
	s_cbranch_vccnz .LBB3_380
; %bb.379:                              ;   in Loop: Header=BB3_340 Depth=1
	global_load_b64 v[18:19], v5, s[0:1]
	s_add_co_i32 s16, s20, -8
.LBB3_380:                              ;   in Loop: Header=BB3_340 Depth=1
	s_delay_alu instid0(SALU_CYCLE_1)
	s_cmp_gt_u32 s16, 7
	s_cbranch_scc1 .LBB3_385
; %bb.381:                              ;   in Loop: Header=BB3_340 Depth=1
	v_mov_b64_e32 v[20:21], 0
	s_cmp_eq_u32 s16, 0
	s_cbranch_scc1 .LBB3_384
; %bb.382:                              ;   in Loop: Header=BB3_340 Depth=1
	s_wait_xcnt 0x0
	s_mov_b64 s[0:1], 0
	s_mov_b64 s[14:15], 0
.LBB3_383:                              ;   Parent Loop BB3_340 Depth=1
                                        ; =>  This Inner Loop Header: Depth=2
	s_wait_xcnt 0x0
	s_add_nc_u64 s[20:21], s[12:13], s[14:15]
	s_add_nc_u64 s[14:15], s[14:15], 1
	global_load_u8 v1, v5, s[20:21]
	s_cmp_lg_u32 s16, s14
	s_wait_loadcnt 0x0
	v_and_b32_e32 v4, 0xffff, v1
	s_delay_alu instid0(VALU_DEP_1) | instskip(SKIP_1) | instid1(VALU_DEP_1)
	v_lshlrev_b64_e32 v[22:23], s0, v[4:5]
	s_add_nc_u64 s[0:1], s[0:1], 8
	v_or_b32_e32 v20, v22, v20
	s_delay_alu instid0(VALU_DEP_2)
	v_or_b32_e32 v21, v23, v21
	s_cbranch_scc1 .LBB3_383
.LBB3_384:                              ;   in Loop: Header=BB3_340 Depth=1
	s_mov_b32 s14, 0
	s_wait_xcnt 0x0
	s_mov_b64 s[0:1], s[12:13]
	s_branch .LBB3_386
.LBB3_385:                              ;   in Loop: Header=BB3_340 Depth=1
	s_wait_xcnt 0x0
	s_add_nc_u64 s[0:1], s[12:13], 8
	s_mov_b32 s14, -1
                                        ; implicit-def: $vgpr20_vgpr21
.LBB3_386:                              ;   in Loop: Header=BB3_340 Depth=1
	s_delay_alu instid0(SALU_CYCLE_1)
	s_and_not1_b32 vcc_lo, exec_lo, s14
	s_mov_b32 s20, 0
	s_cbranch_vccnz .LBB3_388
; %bb.387:                              ;   in Loop: Header=BB3_340 Depth=1
	global_load_b64 v[20:21], v5, s[12:13]
	s_add_co_i32 s20, s16, -8
.LBB3_388:                              ;   in Loop: Header=BB3_340 Depth=1
	s_delay_alu instid0(SALU_CYCLE_1)
	s_cmp_gt_u32 s20, 7
	s_cbranch_scc1 .LBB3_393
; %bb.389:                              ;   in Loop: Header=BB3_340 Depth=1
	v_mov_b64_e32 v[22:23], 0
	s_cmp_eq_u32 s20, 0
	s_cbranch_scc1 .LBB3_392
; %bb.390:                              ;   in Loop: Header=BB3_340 Depth=1
	s_wait_xcnt 0x0
	s_mov_b64 s[12:13], 0
	s_mov_b64 s[14:15], s[0:1]
.LBB3_391:                              ;   Parent Loop BB3_340 Depth=1
                                        ; =>  This Inner Loop Header: Depth=2
	global_load_u8 v1, v5, s[14:15]
	s_add_co_i32 s20, s20, -1
	s_wait_xcnt 0x0
	s_add_nc_u64 s[14:15], s[14:15], 1
	s_cmp_lg_u32 s20, 0
	s_wait_loadcnt 0x0
	v_and_b32_e32 v4, 0xffff, v1
	s_delay_alu instid0(VALU_DEP_1) | instskip(SKIP_1) | instid1(VALU_DEP_1)
	v_lshlrev_b64_e32 v[24:25], s12, v[4:5]
	s_add_nc_u64 s[12:13], s[12:13], 8
	v_or_b32_e32 v22, v24, v22
	s_delay_alu instid0(VALU_DEP_2)
	v_or_b32_e32 v23, v25, v23
	s_cbranch_scc1 .LBB3_391
.LBB3_392:                              ;   in Loop: Header=BB3_340 Depth=1
	s_wait_xcnt 0x0
	s_mov_b32 s12, 0
	s_branch .LBB3_394
.LBB3_393:                              ;   in Loop: Header=BB3_340 Depth=1
	s_wait_xcnt 0x0
	s_mov_b32 s12, -1
.LBB3_394:                              ;   in Loop: Header=BB3_340 Depth=1
	s_delay_alu instid0(SALU_CYCLE_1)
	s_and_not1_b32 vcc_lo, exec_lo, s12
	s_cbranch_vccnz .LBB3_396
; %bb.395:                              ;   in Loop: Header=BB3_340 Depth=1
	global_load_b64 v[22:23], v5, s[0:1]
.LBB3_396:                              ;   in Loop: Header=BB3_340 Depth=1
	s_wait_xcnt 0x0
	v_readfirstlane_b32 s0, v75
	v_mov_b64_e32 v[28:29], 0
	s_delay_alu instid0(VALU_DEP_2)
	v_cmp_eq_u32_e64 s0, s0, v75
	s_and_saveexec_b32 s1, s0
	s_cbranch_execz .LBB3_402
; %bb.397:                              ;   in Loop: Header=BB3_340 Depth=1
	global_load_b64 v[26:27], v5, s[2:3] offset:24 scope:SCOPE_SYS
	s_wait_loadcnt 0x0
	global_inv scope:SCOPE_SYS
	s_clause 0x1
	global_load_b64 v[24:25], v5, s[2:3] offset:40
	global_load_b64 v[28:29], v5, s[2:3]
	s_mov_b32 s12, exec_lo
	s_wait_loadcnt 0x1
	v_and_b32_e32 v24, v24, v26
	v_and_b32_e32 v25, v25, v27
	s_delay_alu instid0(VALU_DEP_1) | instskip(SKIP_1) | instid1(VALU_DEP_1)
	v_mul_u64_e32 v[24:25], 24, v[24:25]
	s_wait_loadcnt 0x0
	v_add_nc_u64_e32 v[24:25], v[28:29], v[24:25]
	global_load_b64 v[24:25], v[24:25], off scope:SCOPE_SYS
	s_wait_xcnt 0x0
	s_wait_loadcnt 0x0
	global_atomic_cmpswap_b64 v[28:29], v5, v[24:27], s[2:3] offset:24 th:TH_ATOMIC_RETURN scope:SCOPE_SYS
	s_wait_loadcnt 0x0
	global_inv scope:SCOPE_SYS
	s_wait_xcnt 0x0
	v_cmpx_ne_u64_e64 v[28:29], v[26:27]
	s_cbranch_execz .LBB3_401
; %bb.398:                              ;   in Loop: Header=BB3_340 Depth=1
	s_mov_b32 s13, 0
.LBB3_399:                              ;   Parent Loop BB3_340 Depth=1
                                        ; =>  This Inner Loop Header: Depth=2
	s_sleep 1
	s_clause 0x1
	global_load_b64 v[24:25], v5, s[2:3] offset:40
	global_load_b64 v[30:31], v5, s[2:3]
	v_mov_b64_e32 v[26:27], v[28:29]
	s_wait_loadcnt 0x1
	s_delay_alu instid0(VALU_DEP_1) | instskip(SKIP_1) | instid1(VALU_DEP_1)
	v_and_b32_e32 v1, v24, v26
	s_wait_loadcnt 0x0
	v_mad_nc_u64_u32 v[28:29], v1, 24, v[30:31]
	s_delay_alu instid0(VALU_DEP_3) | instskip(NEXT) | instid1(VALU_DEP_1)
	v_and_b32_e32 v1, v25, v27
	v_mad_u32 v29, v1, 24, v29
	global_load_b64 v[24:25], v[28:29], off scope:SCOPE_SYS
	s_wait_xcnt 0x0
	s_wait_loadcnt 0x0
	global_atomic_cmpswap_b64 v[28:29], v5, v[24:27], s[2:3] offset:24 th:TH_ATOMIC_RETURN scope:SCOPE_SYS
	s_wait_loadcnt 0x0
	global_inv scope:SCOPE_SYS
	v_cmp_eq_u64_e32 vcc_lo, v[28:29], v[26:27]
	s_or_b32 s13, vcc_lo, s13
	s_wait_xcnt 0x0
	s_and_not1_b32 exec_lo, exec_lo, s13
	s_cbranch_execnz .LBB3_399
; %bb.400:                              ;   in Loop: Header=BB3_340 Depth=1
	s_or_b32 exec_lo, exec_lo, s13
.LBB3_401:                              ;   in Loop: Header=BB3_340 Depth=1
	s_delay_alu instid0(SALU_CYCLE_1)
	s_or_b32 exec_lo, exec_lo, s12
.LBB3_402:                              ;   in Loop: Header=BB3_340 Depth=1
	s_delay_alu instid0(SALU_CYCLE_1)
	s_or_b32 exec_lo, exec_lo, s1
	s_clause 0x1
	global_load_b64 v[30:31], v5, s[2:3] offset:40
	global_load_b128 v[24:27], v5, s[2:3]
	v_readfirstlane_b32 s12, v28
	v_readfirstlane_b32 s13, v29
	s_mov_b32 s1, exec_lo
	s_wait_loadcnt 0x1
	v_and_b32_e32 v30, s12, v30
	v_and_b32_e32 v31, s13, v31
	s_delay_alu instid0(VALU_DEP_1) | instskip(SKIP_1) | instid1(VALU_DEP_1)
	v_mul_u64_e32 v[28:29], 24, v[30:31]
	s_wait_loadcnt 0x0
	v_add_nc_u64_e32 v[28:29], v[24:25], v[28:29]
	s_wait_xcnt 0x0
	s_and_saveexec_b32 s14, s0
	s_cbranch_execz .LBB3_404
; %bb.403:                              ;   in Loop: Header=BB3_340 Depth=1
	v_mov_b32_e32 v4, s1
	global_store_b128 v[28:29], v[4:7], off offset:8
.LBB3_404:                              ;   in Loop: Header=BB3_340 Depth=1
	s_wait_xcnt 0x0
	s_or_b32 exec_lo, exec_lo, s14
	v_cmp_gt_u64_e64 s1, s[6:7], 56
	v_lshlrev_b64_e32 v[30:31], 12, v[30:31]
	v_and_b32_e32 v1, 0xffffff1f, v8
	s_and_b32 s1, s1, exec_lo
	s_delay_alu instid0(VALU_DEP_2) | instskip(SKIP_4) | instid1(VALU_DEP_2)
	v_add_nc_u64_e32 v[26:27], v[26:27], v[30:31]
	s_cselect_b32 s1, 0, 2
	s_lshl_b32 s14, s10, 2
	v_or_b32_e32 v1, s1, v1
	s_add_co_i32 s1, s14, 28
	v_readfirstlane_b32 s14, v26
	s_delay_alu instid0(VALU_DEP_3) | instskip(NEXT) | instid1(VALU_DEP_3)
	v_readfirstlane_b32 s15, v27
	v_and_or_b32 v8, 0x1e0, s1, v1
	s_clause 0x3
	global_store_b128 v0, v[8:11], s[14:15]
	global_store_b128 v0, v[12:15], s[14:15] offset:16
	global_store_b128 v0, v[16:19], s[14:15] offset:32
	;; [unrolled: 1-line block ×3, first 2 shown]
	s_wait_xcnt 0x0
	s_and_saveexec_b32 s1, s0
	s_cbranch_execz .LBB3_412
; %bb.405:                              ;   in Loop: Header=BB3_340 Depth=1
	s_clause 0x1
	global_load_b64 v[16:17], v5, s[2:3] offset:32 scope:SCOPE_SYS
	global_load_b64 v[8:9], v5, s[2:3] offset:40
	s_mov_b32 s14, exec_lo
	v_dual_mov_b32 v14, s12 :: v_dual_mov_b32 v15, s13
	s_wait_loadcnt 0x0
	v_and_b32_e32 v9, s13, v9
	v_and_b32_e32 v8, s12, v8
	s_delay_alu instid0(VALU_DEP_1) | instskip(NEXT) | instid1(VALU_DEP_1)
	v_mul_u64_e32 v[8:9], 24, v[8:9]
	v_add_nc_u64_e32 v[12:13], v[24:25], v[8:9]
	global_store_b64 v[12:13], v[16:17], off
	global_wb scope:SCOPE_SYS
	s_wait_storecnt 0x0
	s_wait_xcnt 0x0
	global_atomic_cmpswap_b64 v[10:11], v5, v[14:17], s[2:3] offset:32 th:TH_ATOMIC_RETURN scope:SCOPE_SYS
	s_wait_loadcnt 0x0
	v_cmpx_ne_u64_e64 v[10:11], v[16:17]
	s_cbranch_execz .LBB3_408
; %bb.406:                              ;   in Loop: Header=BB3_340 Depth=1
	s_mov_b32 s15, 0
.LBB3_407:                              ;   Parent Loop BB3_340 Depth=1
                                        ; =>  This Inner Loop Header: Depth=2
	v_dual_mov_b32 v8, s12 :: v_dual_mov_b32 v9, s13
	s_sleep 1
	global_store_b64 v[12:13], v[10:11], off
	global_wb scope:SCOPE_SYS
	s_wait_storecnt 0x0
	s_wait_xcnt 0x0
	global_atomic_cmpswap_b64 v[8:9], v5, v[8:11], s[2:3] offset:32 th:TH_ATOMIC_RETURN scope:SCOPE_SYS
	s_wait_loadcnt 0x0
	v_cmp_eq_u64_e32 vcc_lo, v[8:9], v[10:11]
	v_mov_b64_e32 v[10:11], v[8:9]
	s_or_b32 s15, vcc_lo, s15
	s_delay_alu instid0(SALU_CYCLE_1)
	s_and_not1_b32 exec_lo, exec_lo, s15
	s_cbranch_execnz .LBB3_407
.LBB3_408:                              ;   in Loop: Header=BB3_340 Depth=1
	s_or_b32 exec_lo, exec_lo, s14
	global_load_b64 v[8:9], v5, s[2:3] offset:16
	s_mov_b32 s15, exec_lo
	s_mov_b32 s14, exec_lo
	v_mbcnt_lo_u32_b32 v1, s15, 0
	s_wait_xcnt 0x0
	s_delay_alu instid0(VALU_DEP_1)
	v_cmpx_eq_u32_e32 0, v1
	s_cbranch_execz .LBB3_410
; %bb.409:                              ;   in Loop: Header=BB3_340 Depth=1
	s_bcnt1_i32_b32 s15, s15
	s_delay_alu instid0(SALU_CYCLE_1)
	v_mov_b32_e32 v4, s15
	global_wb scope:SCOPE_SYS
	s_wait_loadcnt 0x0
	s_wait_storecnt 0x0
	global_atomic_add_u64 v[8:9], v[4:5], off offset:8 scope:SCOPE_SYS
.LBB3_410:                              ;   in Loop: Header=BB3_340 Depth=1
	s_wait_xcnt 0x0
	s_or_b32 exec_lo, exec_lo, s14
	s_wait_loadcnt 0x0
	global_load_b64 v[10:11], v[8:9], off offset:16
	s_wait_loadcnt 0x0
	v_cmp_eq_u64_e32 vcc_lo, 0, v[10:11]
	s_cbranch_vccnz .LBB3_412
; %bb.411:                              ;   in Loop: Header=BB3_340 Depth=1
	global_load_b32 v4, v[8:9], off offset:24
	s_wait_loadcnt 0x0
	v_readfirstlane_b32 s14, v4
	global_wb scope:SCOPE_SYS
	s_wait_storecnt 0x0
	s_wait_xcnt 0x0
	global_store_b64 v[10:11], v[4:5], off scope:SCOPE_SYS
	s_and_b32 m0, s14, 0xffffff
	s_sendmsg sendmsg(MSG_INTERRUPT)
.LBB3_412:                              ;   in Loop: Header=BB3_340 Depth=1
	s_wait_xcnt 0x0
	s_or_b32 exec_lo, exec_lo, s1
	v_mov_b32_e32 v1, v5
	s_delay_alu instid0(VALU_DEP_1)
	v_add_nc_u64_e32 v[8:9], v[26:27], v[0:1]
	s_branch .LBB3_416
.LBB3_413:                              ;   in Loop: Header=BB3_416 Depth=2
	s_wait_xcnt 0x0
	s_or_b32 exec_lo, exec_lo, s1
	s_delay_alu instid0(VALU_DEP_1)
	v_readfirstlane_b32 s1, v1
	s_cmp_eq_u32 s1, 0
	s_cbranch_scc1 .LBB3_415
; %bb.414:                              ;   in Loop: Header=BB3_416 Depth=2
	s_sleep 1
	s_cbranch_execnz .LBB3_416
	s_branch .LBB3_418
.LBB3_415:                              ;   in Loop: Header=BB3_340 Depth=1
	s_branch .LBB3_418
.LBB3_416:                              ;   Parent Loop BB3_340 Depth=1
                                        ; =>  This Inner Loop Header: Depth=2
	v_mov_b32_e32 v1, 1
	s_and_saveexec_b32 s1, s0
	s_cbranch_execz .LBB3_413
; %bb.417:                              ;   in Loop: Header=BB3_416 Depth=2
	global_load_b32 v1, v[28:29], off offset:20 scope:SCOPE_SYS
	s_wait_loadcnt 0x0
	global_inv scope:SCOPE_SYS
	v_and_b32_e32 v1, 1, v1
	s_branch .LBB3_413
.LBB3_418:                              ;   in Loop: Header=BB3_340 Depth=1
	global_load_b128 v[8:11], v[8:9], off
	s_wait_xcnt 0x0
	s_and_saveexec_b32 s14, s0
	s_cbranch_execz .LBB3_339
; %bb.419:                              ;   in Loop: Header=BB3_340 Depth=1
	s_wait_loadcnt 0x0
	s_clause 0x2
	global_load_b64 v[10:11], v5, s[2:3] offset:40
	global_load_b64 v[18:19], v5, s[2:3] offset:24 scope:SCOPE_SYS
	global_load_b64 v[12:13], v5, s[2:3]
	s_wait_loadcnt 0x2
	v_readfirstlane_b32 s20, v10
	v_readfirstlane_b32 s21, v11
	s_add_nc_u64 s[0:1], s[20:21], 1
	s_delay_alu instid0(SALU_CYCLE_1) | instskip(NEXT) | instid1(SALU_CYCLE_1)
	s_add_nc_u64 s[12:13], s[0:1], s[12:13]
	s_cmp_eq_u64 s[12:13], 0
	s_cselect_b32 s1, s1, s13
	s_cselect_b32 s0, s0, s12
	s_delay_alu instid0(SALU_CYCLE_1) | instskip(SKIP_1) | instid1(SALU_CYCLE_1)
	v_dual_mov_b32 v17, s1 :: v_dual_mov_b32 v16, s0
	s_and_b64 s[12:13], s[0:1], s[20:21]
	s_mul_u64 s[12:13], s[12:13], 24
	s_wait_loadcnt 0x0
	v_add_nc_u64_e32 v[14:15], s[12:13], v[12:13]
	global_store_b64 v[14:15], v[18:19], off
	global_wb scope:SCOPE_SYS
	s_wait_storecnt 0x0
	s_wait_xcnt 0x0
	global_atomic_cmpswap_b64 v[12:13], v5, v[16:19], s[2:3] offset:24 th:TH_ATOMIC_RETURN scope:SCOPE_SYS
	s_wait_loadcnt 0x0
	v_cmp_ne_u64_e32 vcc_lo, v[12:13], v[18:19]
	s_and_b32 exec_lo, exec_lo, vcc_lo
	s_cbranch_execz .LBB3_339
; %bb.420:                              ;   in Loop: Header=BB3_340 Depth=1
	s_mov_b32 s12, 0
.LBB3_421:                              ;   Parent Loop BB3_340 Depth=1
                                        ; =>  This Inner Loop Header: Depth=2
	v_dual_mov_b32 v10, s0 :: v_dual_mov_b32 v11, s1
	s_sleep 1
	global_store_b64 v[14:15], v[12:13], off
	global_wb scope:SCOPE_SYS
	s_wait_storecnt 0x0
	s_wait_xcnt 0x0
	global_atomic_cmpswap_b64 v[10:11], v5, v[10:13], s[2:3] offset:24 th:TH_ATOMIC_RETURN scope:SCOPE_SYS
	s_wait_loadcnt 0x0
	v_cmp_eq_u64_e32 vcc_lo, v[10:11], v[12:13]
	v_mov_b64_e32 v[12:13], v[10:11]
	s_or_b32 s12, vcc_lo, s12
	s_delay_alu instid0(SALU_CYCLE_1)
	s_and_not1_b32 exec_lo, exec_lo, s12
	s_cbranch_execnz .LBB3_421
	s_branch .LBB3_339
.LBB3_422:
	s_mov_b32 s0, 0
	s_branch .LBB3_424
.LBB3_423:
	s_mov_b32 s0, -1
.LBB3_424:
	s_delay_alu instid0(SALU_CYCLE_1)
	s_and_b32 vcc_lo, exec_lo, s0
	s_cbranch_vccz .LBB3_452
; %bb.425:
	v_readfirstlane_b32 s0, v75
	s_wait_loadcnt 0x0
	v_mov_b64_e32 v[10:11], 0
	s_delay_alu instid0(VALU_DEP_2)
	v_cmp_eq_u32_e64 s0, s0, v75
	s_and_saveexec_b32 s1, s0
	s_cbranch_execz .LBB3_431
; %bb.426:
	v_mov_b32_e32 v1, 0
	s_mov_b32 s4, exec_lo
	global_load_b64 v[6:7], v1, s[2:3] offset:24 scope:SCOPE_SYS
	s_wait_loadcnt 0x0
	global_inv scope:SCOPE_SYS
	s_clause 0x1
	global_load_b64 v[4:5], v1, s[2:3] offset:40
	global_load_b64 v[8:9], v1, s[2:3]
	s_wait_loadcnt 0x1
	v_and_b32_e32 v4, v4, v6
	v_and_b32_e32 v5, v5, v7
	s_delay_alu instid0(VALU_DEP_1) | instskip(SKIP_1) | instid1(VALU_DEP_1)
	v_mul_u64_e32 v[4:5], 24, v[4:5]
	s_wait_loadcnt 0x0
	v_add_nc_u64_e32 v[4:5], v[8:9], v[4:5]
	global_load_b64 v[4:5], v[4:5], off scope:SCOPE_SYS
	s_wait_xcnt 0x0
	s_wait_loadcnt 0x0
	global_atomic_cmpswap_b64 v[10:11], v1, v[4:7], s[2:3] offset:24 th:TH_ATOMIC_RETURN scope:SCOPE_SYS
	s_wait_loadcnt 0x0
	global_inv scope:SCOPE_SYS
	s_wait_xcnt 0x0
	v_cmpx_ne_u64_e64 v[10:11], v[6:7]
	s_cbranch_execz .LBB3_430
; %bb.427:
	s_mov_b32 s5, 0
.LBB3_428:                              ; =>This Inner Loop Header: Depth=1
	s_sleep 1
	s_clause 0x1
	global_load_b64 v[4:5], v1, s[2:3] offset:40
	global_load_b64 v[8:9], v1, s[2:3]
	v_mov_b64_e32 v[6:7], v[10:11]
	s_wait_loadcnt 0x1
	s_delay_alu instid0(VALU_DEP_1) | instskip(SKIP_1) | instid1(VALU_DEP_1)
	v_and_b32_e32 v4, v4, v6
	s_wait_loadcnt 0x0
	v_mad_nc_u64_u32 v[8:9], v4, 24, v[8:9]
	s_delay_alu instid0(VALU_DEP_3) | instskip(NEXT) | instid1(VALU_DEP_1)
	v_and_b32_e32 v4, v5, v7
	v_mad_u32 v9, v4, 24, v9
	global_load_b64 v[4:5], v[8:9], off scope:SCOPE_SYS
	s_wait_xcnt 0x0
	s_wait_loadcnt 0x0
	global_atomic_cmpswap_b64 v[10:11], v1, v[4:7], s[2:3] offset:24 th:TH_ATOMIC_RETURN scope:SCOPE_SYS
	s_wait_loadcnt 0x0
	global_inv scope:SCOPE_SYS
	v_cmp_eq_u64_e32 vcc_lo, v[10:11], v[6:7]
	s_or_b32 s5, vcc_lo, s5
	s_wait_xcnt 0x0
	s_and_not1_b32 exec_lo, exec_lo, s5
	s_cbranch_execnz .LBB3_428
; %bb.429:
	s_or_b32 exec_lo, exec_lo, s5
.LBB3_430:
	s_delay_alu instid0(SALU_CYCLE_1)
	s_or_b32 exec_lo, exec_lo, s4
.LBB3_431:
	s_delay_alu instid0(SALU_CYCLE_1)
	s_or_b32 exec_lo, exec_lo, s1
	v_readfirstlane_b32 s4, v10
	v_mov_b32_e32 v4, 0
	v_readfirstlane_b32 s5, v11
	s_mov_b32 s1, exec_lo
	s_clause 0x1
	global_load_b64 v[12:13], v4, s[2:3] offset:40
	global_load_b128 v[6:9], v4, s[2:3]
	s_wait_loadcnt 0x1
	v_and_b32_e32 v12, s4, v12
	v_and_b32_e32 v13, s5, v13
	s_delay_alu instid0(VALU_DEP_1) | instskip(SKIP_1) | instid1(VALU_DEP_1)
	v_mul_u64_e32 v[10:11], 24, v[12:13]
	s_wait_loadcnt 0x0
	v_add_nc_u64_e32 v[10:11], v[6:7], v[10:11]
	s_wait_xcnt 0x0
	s_and_saveexec_b32 s6, s0
	s_cbranch_execz .LBB3_433
; %bb.432:
	v_mov_b64_e32 v[16:17], 0x100000002
	v_dual_mov_b32 v14, s1 :: v_dual_mov_b32 v15, v4
	global_store_b128 v[10:11], v[14:17], off offset:8
.LBB3_433:
	s_wait_xcnt 0x0
	s_or_b32 exec_lo, exec_lo, s6
	v_lshlrev_b64_e32 v[12:13], 12, v[12:13]
	s_mov_b32 s12, 0
	v_and_or_b32 v2, 0xffffff1d, v2, 34
	s_mov_b32 s13, s12
	s_mov_b32 s14, s12
	;; [unrolled: 1-line block ×3, first 2 shown]
	v_mov_b32_e32 v5, v4
	v_add_nc_u64_e32 v[8:9], v[8:9], v[12:13]
	v_mov_b64_e32 v[12:13], s[12:13]
	v_mov_b64_e32 v[14:15], s[14:15]
	s_delay_alu instid0(VALU_DEP_3) | instskip(NEXT) | instid1(VALU_DEP_4)
	v_readfirstlane_b32 s6, v8
	v_readfirstlane_b32 s7, v9
	s_clause 0x3
	global_store_b128 v0, v[2:5], s[6:7]
	global_store_b128 v0, v[12:15], s[6:7] offset:16
	global_store_b128 v0, v[12:15], s[6:7] offset:32
	;; [unrolled: 1-line block ×3, first 2 shown]
	s_wait_xcnt 0x0
	s_and_saveexec_b32 s1, s0
	s_cbranch_execz .LBB3_441
; %bb.434:
	v_dual_mov_b32 v8, 0 :: v_dual_mov_b32 v13, s5
	s_mov_b32 s6, exec_lo
	s_clause 0x1
	global_load_b64 v[14:15], v8, s[2:3] offset:32 scope:SCOPE_SYS
	global_load_b64 v[0:1], v8, s[2:3] offset:40
	s_wait_loadcnt 0x0
	v_dual_mov_b32 v12, s4 :: v_dual_bitop2_b32 v1, s5, v1 bitop3:0x40
	v_and_b32_e32 v0, s4, v0
	s_delay_alu instid0(VALU_DEP_1) | instskip(NEXT) | instid1(VALU_DEP_1)
	v_mul_u64_e32 v[0:1], 24, v[0:1]
	v_add_nc_u64_e32 v[4:5], v[6:7], v[0:1]
	global_store_b64 v[4:5], v[14:15], off
	global_wb scope:SCOPE_SYS
	s_wait_storecnt 0x0
	s_wait_xcnt 0x0
	global_atomic_cmpswap_b64 v[2:3], v8, v[12:15], s[2:3] offset:32 th:TH_ATOMIC_RETURN scope:SCOPE_SYS
	s_wait_loadcnt 0x0
	v_cmpx_ne_u64_e64 v[2:3], v[14:15]
	s_cbranch_execz .LBB3_437
; %bb.435:
	s_mov_b32 s7, 0
.LBB3_436:                              ; =>This Inner Loop Header: Depth=1
	v_dual_mov_b32 v0, s4 :: v_dual_mov_b32 v1, s5
	s_sleep 1
	global_store_b64 v[4:5], v[2:3], off
	global_wb scope:SCOPE_SYS
	s_wait_storecnt 0x0
	s_wait_xcnt 0x0
	global_atomic_cmpswap_b64 v[0:1], v8, v[0:3], s[2:3] offset:32 th:TH_ATOMIC_RETURN scope:SCOPE_SYS
	s_wait_loadcnt 0x0
	v_cmp_eq_u64_e32 vcc_lo, v[0:1], v[2:3]
	v_mov_b64_e32 v[2:3], v[0:1]
	s_or_b32 s7, vcc_lo, s7
	s_delay_alu instid0(SALU_CYCLE_1)
	s_and_not1_b32 exec_lo, exec_lo, s7
	s_cbranch_execnz .LBB3_436
.LBB3_437:
	s_or_b32 exec_lo, exec_lo, s6
	v_mov_b32_e32 v3, 0
	s_mov_b32 s7, exec_lo
	s_mov_b32 s6, exec_lo
	v_mbcnt_lo_u32_b32 v2, s7, 0
	global_load_b64 v[0:1], v3, s[2:3] offset:16
	s_wait_xcnt 0x0
	v_cmpx_eq_u32_e32 0, v2
	s_cbranch_execz .LBB3_439
; %bb.438:
	s_bcnt1_i32_b32 s7, s7
	s_delay_alu instid0(SALU_CYCLE_1)
	v_mov_b32_e32 v2, s7
	global_wb scope:SCOPE_SYS
	s_wait_loadcnt 0x0
	s_wait_storecnt 0x0
	global_atomic_add_u64 v[0:1], v[2:3], off offset:8 scope:SCOPE_SYS
.LBB3_439:
	s_wait_xcnt 0x0
	s_or_b32 exec_lo, exec_lo, s6
	s_wait_loadcnt 0x0
	global_load_b64 v[2:3], v[0:1], off offset:16
	s_wait_loadcnt 0x0
	v_cmp_eq_u64_e32 vcc_lo, 0, v[2:3]
	s_cbranch_vccnz .LBB3_441
; %bb.440:
	global_load_b32 v0, v[0:1], off offset:24
	s_wait_xcnt 0x0
	v_mov_b32_e32 v1, 0
	s_wait_loadcnt 0x0
	v_readfirstlane_b32 s6, v0
	global_wb scope:SCOPE_SYS
	s_wait_storecnt 0x0
	global_store_b64 v[2:3], v[0:1], off scope:SCOPE_SYS
	s_and_b32 m0, s6, 0xffffff
	s_sendmsg sendmsg(MSG_INTERRUPT)
.LBB3_441:
	s_wait_xcnt 0x0
	s_or_b32 exec_lo, exec_lo, s1
	s_branch .LBB3_445
.LBB3_442:                              ;   in Loop: Header=BB3_445 Depth=1
	s_wait_xcnt 0x0
	s_or_b32 exec_lo, exec_lo, s1
	s_delay_alu instid0(VALU_DEP_1)
	v_readfirstlane_b32 s1, v0
	s_cmp_eq_u32 s1, 0
	s_cbranch_scc1 .LBB3_444
; %bb.443:                              ;   in Loop: Header=BB3_445 Depth=1
	s_sleep 1
	s_cbranch_execnz .LBB3_445
	s_branch .LBB3_447
.LBB3_444:
	s_branch .LBB3_447
.LBB3_445:                              ; =>This Inner Loop Header: Depth=1
	v_mov_b32_e32 v0, 1
	s_and_saveexec_b32 s1, s0
	s_cbranch_execz .LBB3_442
; %bb.446:                              ;   in Loop: Header=BB3_445 Depth=1
	global_load_b32 v0, v[10:11], off offset:20 scope:SCOPE_SYS
	s_wait_loadcnt 0x0
	global_inv scope:SCOPE_SYS
	v_and_b32_e32 v0, 1, v0
	s_branch .LBB3_442
.LBB3_447:
	s_and_saveexec_b32 s6, s0
	s_cbranch_execz .LBB3_451
; %bb.448:
	v_mov_b32_e32 v6, 0
	s_clause 0x2
	global_load_b64 v[0:1], v6, s[2:3] offset:40
	global_load_b64 v[10:11], v6, s[2:3] offset:24 scope:SCOPE_SYS
	global_load_b64 v[2:3], v6, s[2:3]
	s_wait_loadcnt 0x2
	v_readfirstlane_b32 s10, v0
	v_readfirstlane_b32 s11, v1
	s_add_nc_u64 s[0:1], s[10:11], 1
	s_delay_alu instid0(SALU_CYCLE_1) | instskip(NEXT) | instid1(SALU_CYCLE_1)
	s_add_nc_u64 s[4:5], s[0:1], s[4:5]
	s_cmp_eq_u64 s[4:5], 0
	s_cselect_b32 s1, s1, s5
	s_cselect_b32 s0, s0, s4
	v_mov_b32_e32 v9, s1
	s_and_b64 s[4:5], s[0:1], s[10:11]
	v_mov_b32_e32 v8, s0
	s_mul_u64 s[4:5], s[4:5], 24
	s_wait_loadcnt 0x0
	v_add_nc_u64_e32 v[4:5], s[4:5], v[2:3]
	global_store_b64 v[4:5], v[10:11], off
	global_wb scope:SCOPE_SYS
	s_wait_storecnt 0x0
	s_wait_xcnt 0x0
	global_atomic_cmpswap_b64 v[2:3], v6, v[8:11], s[2:3] offset:24 th:TH_ATOMIC_RETURN scope:SCOPE_SYS
	s_wait_loadcnt 0x0
	v_cmp_ne_u64_e32 vcc_lo, v[2:3], v[10:11]
	s_and_b32 exec_lo, exec_lo, vcc_lo
	s_cbranch_execz .LBB3_451
; %bb.449:
	s_mov_b32 s4, 0
.LBB3_450:                              ; =>This Inner Loop Header: Depth=1
	v_dual_mov_b32 v0, s0 :: v_dual_mov_b32 v1, s1
	s_sleep 1
	global_store_b64 v[4:5], v[2:3], off
	global_wb scope:SCOPE_SYS
	s_wait_storecnt 0x0
	s_wait_xcnt 0x0
	global_atomic_cmpswap_b64 v[0:1], v6, v[0:3], s[2:3] offset:24 th:TH_ATOMIC_RETURN scope:SCOPE_SYS
	s_wait_loadcnt 0x0
	v_cmp_eq_u64_e32 vcc_lo, v[0:1], v[2:3]
	v_mov_b64_e32 v[2:3], v[0:1]
	s_or_b32 s4, vcc_lo, s4
	s_delay_alu instid0(SALU_CYCLE_1)
	s_and_not1_b32 exec_lo, exec_lo, s4
	s_cbranch_execnz .LBB3_450
.LBB3_451:
	s_or_b32 exec_lo, exec_lo, s6
.LBB3_452:
	s_get_pc_i64 s[0:1]
	s_add_nc_u64 s[0:1], s[0:1], .str.29@rel64+4
	s_get_pc_i64 s[2:3]
	s_add_nc_u64 s[2:3], s[2:3], .str.19@rel64+4
	s_get_pc_i64 s[4:5]
	s_add_nc_u64 s[4:5], s[4:5], __PRETTY_FUNCTION__._ZN7VecsMemIjLi8192EE5fetchEi@rel64+4
	v_dual_mov_b32 v0, s0 :: v_dual_mov_b32 v1, s1
	s_wait_loadcnt 0x0
	v_dual_mov_b32 v2, s2 :: v_dual_mov_b32 v3, s3
	v_dual_mov_b32 v4, 12 :: v_dual_mov_b32 v5, s4
	v_mov_b32_e32 v6, s5
	s_get_pc_i64 s[6:7]
	s_add_nc_u64 s[6:7], s[6:7], __assert_fail@rel64+4
	s_delay_alu instid0(SALU_CYCLE_1)
	s_swap_pc_i64 s[30:31], s[6:7]
	s_or_b32 s0, s69, exec_lo
.LBB3_453:
	s_or_b32 exec_lo, exec_lo, s19
	s_delay_alu instid0(SALU_CYCLE_1) | instskip(SKIP_1) | instid1(SALU_CYCLE_1)
	s_and_not1_b32 s1, s69, exec_lo
	s_and_b32 s0, s0, exec_lo
	s_or_b32 s19, s1, s0
	s_or_not1_b32 s0, s18, exec_lo
.LBB3_454:
	s_or_b32 exec_lo, exec_lo, s17
	s_and_saveexec_b32 s17, s0
	s_mov_b64 s[8:9], s[34:35]
	s_cbranch_execz .LBB3_487
; %bb.455:
	s_mov_b32 s20, 0
	s_mov_b32 s21, s19
	flat_store_b64 v[72:73], v[70:71] offset:8
	s_mov_b32 s0, exec_lo
	s_wait_xcnt 0x0
	v_cmpx_ne_u64_e32 0, v[70:71]
	s_xor_b32 s18, exec_lo, s0
	s_cbranch_execz .LBB3_484
; %bb.456:
	v_dual_mov_b32 v0, 0 :: v_dual_lshlrev_b32 v4, 1, v60
	s_mov_b32 s0, exec_lo
	v_cmpx_lt_i32_e32 0, v81
	s_cbranch_execz .LBB3_460
; %bb.457:
	scratch_load_b64 v[0:1], off, s33 offset:112
	v_mov_b64_e32 v[2:3], v[70:71]
	v_lshlrev_b32_e64 v5, v4, 1
	v_mov_b32_e32 v6, v81
	s_mov_b32 s1, 0
.LBB3_458:                              ; =>This Inner Loop Header: Depth=1
	s_wait_loadcnt 0x0
	flat_load_b32 v7, v[0:1]
	v_add_nc_u32_e32 v6, -1, v6
	s_wait_xcnt 0x0
	v_add_nc_u64_e32 v[0:1], 4, v[0:1]
	s_wait_loadcnt_dscnt 0x0
	v_or_b32_e32 v7, v7, v5
	v_cmp_eq_u32_e32 vcc_lo, 0, v6
	flat_store_b32 v[2:3], v7
	s_wait_xcnt 0x0
	v_add_nc_u64_e32 v[2:3], 4, v[2:3]
	s_or_b32 s1, vcc_lo, s1
	s_delay_alu instid0(SALU_CYCLE_1)
	s_and_not1_b32 exec_lo, exec_lo, s1
	s_cbranch_execnz .LBB3_458
; %bb.459:
	s_or_b32 exec_lo, exec_lo, s1
	v_mov_b32_e32 v0, v81
.LBB3_460:
	s_or_b32 exec_lo, exec_lo, s0
	s_mov_b32 s1, 0
	s_mov_b32 s0, exec_lo
	v_cmpx_lt_i32_e32 0, v69
	s_cbranch_execz .LBB3_464
; %bb.461:
	scratch_load_b64 v[2:3], off, s33 offset:128
	v_mov_b32_e32 v1, 0
	v_lshlrev_b32_e64 v6, v4, 2
	s_delay_alu instid0(VALU_DEP_2)
	v_lshl_add_u64 v[4:5], v[0:1], 2, v[70:71]
	v_add_nc_u32_e32 v0, v69, v0
.LBB3_462:                              ; =>This Inner Loop Header: Depth=1
	s_wait_loadcnt 0x0
	flat_load_b32 v1, v[2:3]
	v_add_nc_u32_e32 v69, -1, v69
	s_wait_xcnt 0x0
	v_add_nc_u64_e32 v[2:3], 4, v[2:3]
	s_wait_loadcnt_dscnt 0x0
	v_or_b32_e32 v1, v1, v6
	v_cmp_eq_u32_e32 vcc_lo, 0, v69
	flat_store_b32 v[4:5], v1
	s_wait_xcnt 0x0
	v_add_nc_u64_e32 v[4:5], 4, v[4:5]
	s_or_b32 s1, vcc_lo, s1
	s_delay_alu instid0(SALU_CYCLE_1)
	s_and_not1_b32 exec_lo, exec_lo, s1
	s_cbranch_execnz .LBB3_462
; %bb.463:
	s_or_b32 exec_lo, exec_lo, s1
.LBB3_464:
	s_delay_alu instid0(SALU_CYCLE_1)
	s_or_b32 exec_lo, exec_lo, s0
	s_mov_b32 s1, 0
	s_mov_b32 s0, exec_lo
	v_cmpx_lt_i32_e32 0, v67
	s_cbranch_execz .LBB3_468
; %bb.465:
	scratch_load_b64 v[2:3], off, s33 offset:144
	v_mov_b32_e32 v1, 0
	s_delay_alu instid0(VALU_DEP_1)
	v_lshl_add_u64 v[4:5], v[0:1], 2, v[70:71]
	v_add_nc_u32_e32 v0, v67, v0
.LBB3_466:                              ; =>This Inner Loop Header: Depth=1
	s_wait_loadcnt 0x0
	flat_load_b32 v1, v[2:3]
	v_add_nc_u32_e32 v67, -1, v67
	s_wait_xcnt 0x0
	v_add_nc_u64_e32 v[2:3], 4, v[2:3]
	s_delay_alu instid0(VALU_DEP_2)
	v_cmp_eq_u32_e32 vcc_lo, 0, v67
	s_or_b32 s1, vcc_lo, s1
	s_wait_loadcnt_dscnt 0x0
	flat_store_b32 v[4:5], v1
	s_wait_xcnt 0x0
	v_add_nc_u64_e32 v[4:5], 4, v[4:5]
	s_and_not1_b32 exec_lo, exec_lo, s1
	s_cbranch_execnz .LBB3_466
; %bb.467:
	s_or_b32 exec_lo, exec_lo, s1
.LBB3_468:
	s_delay_alu instid0(SALU_CYCLE_1)
	s_or_b32 exec_lo, exec_lo, s0
	flat_load_b32 v1, v[72:73] offset:4
	s_mov_b32 s1, s19
	s_mov_b32 s0, exec_lo
	s_wait_loadcnt_dscnt 0x0
	v_cmpx_ne_u32_e64 v0, v1
	s_xor_b32 s20, exec_lo, s0
	s_cbranch_execz .LBB3_470
; %bb.469:
	s_get_pc_i64 s[0:1]
	s_add_nc_u64 s[0:1], s[0:1], .str.23@rel64+4
	s_get_pc_i64 s[2:3]
	s_add_nc_u64 s[2:3], s[2:3], .str.16@rel64+4
	s_get_pc_i64 s[4:5]
	s_add_nc_u64 s[4:5], s[4:5], __PRETTY_FUNCTION__._ZN3sop13minatoIsopRecEPKjS1_iPNS_3SopEP7VecsMemIjLi8192EE@rel64+4
	v_dual_mov_b32 v0, s0 :: v_dual_mov_b32 v1, s1
	v_dual_mov_b32 v2, s2 :: v_dual_mov_b32 v3, s3
	v_dual_mov_b32 v4, 0xa2 :: v_dual_mov_b32 v5, s4
	v_mov_b32_e32 v6, s5
	s_get_pc_i64 s[6:7]
	s_add_nc_u64 s[6:7], s[6:7], __assert_fail@rel64+4
	s_mov_b64 s[8:9], s[34:35]
	s_swap_pc_i64 s[30:31], s[6:7]
	s_mov_b64 s[8:9], s[34:35]
	s_or_b32 s1, s19, exec_lo
                                        ; implicit-def: $vgpr61
                                        ; implicit-def: $vgpr76_vgpr77
                                        ; implicit-def: $vgpr58_vgpr59
                                        ; implicit-def: $vgpr64_vgpr65
                                        ; implicit-def: $vgpr56_vgpr57
.LBB3_470:
	s_or_saveexec_b32 s2, s20
	s_mov_b32 s0, 0
	s_xor_b32 exec_lo, exec_lo, s2
	s_cbranch_execz .LBB3_483
; %bb.471:
	s_and_saveexec_b32 s0, s36
	s_cbranch_execz .LBB3_476
; %bb.472:
	v_dual_mov_b32 v1, 0 :: v_dual_add_nc_u32 v0, -1, v76
	v_add_nc_u32_e32 v10, 1, v76
	s_mov_b32 s3, 0
	s_delay_alu instid0(VALU_DEP_2) | instskip(NEXT) | instid1(VALU_DEP_2)
	v_lshlrev_b64_e32 v[2:3], 2, v[0:1]
	v_mov_b32_e32 v11, v10
	s_delay_alu instid0(VALU_DEP_2) | instskip(SKIP_2) | instid1(VALU_DEP_3)
	v_add_nc_u64_e32 v[0:1], v[64:65], v[2:3]
	v_add_nc_u64_e32 v[4:5], v[42:43], v[2:3]
	;; [unrolled: 1-line block ×3, first 2 shown]
	v_mov_b64_e32 v[8:9], v[0:1]
.LBB3_473:                              ; =>This Inner Loop Header: Depth=1
	flat_load_b32 v12, v[6:7]
	flat_load_b32 v13, v[8:9]
	v_add_nc_u32_e32 v11, -1, v11
	s_wait_xcnt 0x0
	v_add_nc_u64_e32 v[8:9], -4, v[8:9]
	v_add_nc_u64_e32 v[6:7], -4, v[6:7]
	s_wait_loadcnt_dscnt 0x0
	v_or_b32_e32 v12, v13, v12
	v_cmp_gt_u32_e32 vcc_lo, 2, v11
	flat_store_b32 v[4:5], v12
	s_wait_xcnt 0x0
	v_add_nc_u64_e32 v[4:5], -4, v[4:5]
	s_or_b32 s3, vcc_lo, s3
	s_delay_alu instid0(SALU_CYCLE_1)
	s_and_not1_b32 exec_lo, exec_lo, s3
	s_cbranch_execnz .LBB3_473
; %bb.474:
	s_or_b32 exec_lo, exec_lo, s3
	v_lshl_add_u64 v[4:5], v[76:77], 2, v[2:3]
	v_add_nc_u64_e32 v[2:3], v[58:59], v[2:3]
	s_mov_b32 s3, 0
	s_delay_alu instid0(VALU_DEP_2)
	v_add_nc_u64_e32 v[4:5], v[42:43], v[4:5]
.LBB3_475:                              ; =>This Inner Loop Header: Depth=1
	flat_load_b32 v6, v[2:3]
	flat_load_b32 v7, v[0:1]
	v_add_nc_u32_e32 v10, -1, v10
	s_wait_xcnt 0x0
	v_add_nc_u64_e32 v[0:1], -4, v[0:1]
	v_add_nc_u64_e32 v[2:3], -4, v[2:3]
	s_delay_alu instid0(VALU_DEP_3)
	v_cmp_gt_u32_e32 vcc_lo, 2, v10
	s_or_b32 s3, vcc_lo, s3
	s_wait_loadcnt_dscnt 0x0
	v_or_b32_e32 v6, v7, v6
	flat_store_b32 v[4:5], v6
	s_wait_xcnt 0x0
	v_add_nc_u64_e32 v[4:5], -4, v[4:5]
	s_and_not1_b32 exec_lo, exec_lo, s3
	s_cbranch_execnz .LBB3_475
.LBB3_476:
	s_or_b32 exec_lo, exec_lo, s0
	v_lshlrev_b32_e64 v6, v61, 2
	s_mov_b32 s3, 0
	s_mov_b32 s5, 1
	s_mov_b32 s4, exec_lo
	v_ashrrev_i32_e32 v4, 31, v74
	v_ashrrev_i32_e32 v0, 31, v6
	s_delay_alu instid0(VALU_DEP_1) | instskip(NEXT) | instid1(VALU_DEP_1)
	v_add_nc_u32_e32 v1, v6, v0
	v_xor_b32_e32 v1, v1, v0
	s_delay_alu instid0(VALU_DEP_4) | instskip(NEXT) | instid1(VALU_DEP_2)
	v_add_nc_u32_e32 v5, v74, v4
	v_cvt_f32_u32_e32 v2, v1
	v_dual_sub_nc_u32 v3, 0, v1 :: v_dual_bitop2_b32 v0, v4, v0 bitop3:0x14
	s_delay_alu instid0(VALU_DEP_2) | instskip(SKIP_1) | instid1(TRANS32_DEP_1)
	v_rcp_iflag_f32_e32 v2, v2
	v_nop
	v_mul_f32_e32 v2, 0x4f7ffffe, v2
	s_delay_alu instid0(VALU_DEP_1) | instskip(NEXT) | instid1(VALU_DEP_1)
	v_cvt_u32_f32_e32 v2, v2
	v_mul_lo_u32 v3, v3, v2
	s_delay_alu instid0(VALU_DEP_1) | instskip(NEXT) | instid1(VALU_DEP_1)
	v_mul_hi_u32 v3, v2, v3
	v_dual_add_nc_u32 v2, v2, v3 :: v_dual_bitop2_b32 v5, v5, v4 bitop3:0x14
	s_delay_alu instid0(VALU_DEP_1) | instskip(NEXT) | instid1(VALU_DEP_1)
	v_mul_hi_u32 v2, v5, v2
	v_mul_lo_u32 v3, v2, v1
	s_delay_alu instid0(VALU_DEP_1) | instskip(NEXT) | instid1(VALU_DEP_1)
	v_dual_sub_nc_u32 v3, v5, v3 :: v_dual_add_nc_u32 v5, 1, v2
	v_sub_nc_u32_e32 v7, v3, v1
	v_cmp_ge_u32_e32 vcc_lo, v3, v1
	s_delay_alu instid0(VALU_DEP_2) | instskip(NEXT) | instid1(VALU_DEP_1)
	v_dual_cndmask_b32 v3, v3, v7 :: v_dual_cndmask_b32 v2, v2, v5
	v_cmp_ge_u32_e32 vcc_lo, v3, v1
	s_delay_alu instid0(VALU_DEP_2) | instskip(NEXT) | instid1(VALU_DEP_1)
	v_add_nc_u32_e32 v5, 1, v2
	v_cndmask_b32_e32 v1, v2, v5, vcc_lo
	s_delay_alu instid0(VALU_DEP_1) | instskip(NEXT) | instid1(VALU_DEP_1)
	v_xor_b32_e32 v1, v1, v0
	v_sub_nc_u32_e32 v7, v1, v0
	s_delay_alu instid0(VALU_DEP_1)
	v_cmpx_lt_i32_e32 1, v7
	s_cbranch_execz .LBB3_482
; %bb.477:
	v_dual_mov_b32 v1, 0 :: v_dual_mov_b32 v0, v6
	v_cmp_lt_i32_e32 vcc_lo, 0, v6
	s_branch .LBB3_479
.LBB3_478:                              ;   in Loop: Header=BB3_479 Depth=1
	s_or_b32 exec_lo, exec_lo, s6
	s_add_co_i32 s5, s5, 1
	v_add_nc_u32_e32 v0, v0, v6
	v_cmp_eq_u32_e64 s0, s5, v7
	s_or_b32 s3, s0, s3
	s_delay_alu instid0(SALU_CYCLE_1)
	s_and_not1_b32 exec_lo, exec_lo, s3
	s_cbranch_execz .LBB3_482
.LBB3_479:                              ; =>This Loop Header: Depth=1
                                        ;     Child Loop BB3_481 Depth 2
	s_and_saveexec_b32 s6, vcc_lo
	s_cbranch_execz .LBB3_478
; %bb.480:                              ;   in Loop: Header=BB3_479 Depth=1
	v_lshlrev_b64_e32 v[2:3], 2, v[0:1]
	v_mov_b64_e32 v[4:5], v[42:43]
	v_mov_b32_e32 v8, v6
	s_mov_b32 s7, 0
.LBB3_481:                              ;   Parent Loop BB3_479 Depth=1
                                        ; =>  This Inner Loop Header: Depth=2
	flat_load_b32 v9, v[4:5]
	v_add_nc_u32_e32 v8, -1, v8
	v_add_nc_u64_e32 v[10:11], v[4:5], v[2:3]
	s_wait_xcnt 0x0
	v_add_nc_u64_e32 v[4:5], 4, v[4:5]
	s_delay_alu instid0(VALU_DEP_3)
	v_cmp_eq_u32_e64 s0, 0, v8
	s_or_b32 s7, s0, s7
	s_wait_loadcnt_dscnt 0x0
	flat_store_b32 v[10:11], v9
	s_wait_xcnt 0x0
	s_and_not1_b32 exec_lo, exec_lo, s7
	s_cbranch_execnz .LBB3_481
	s_branch .LBB3_478
.LBB3_482:
	s_or_b32 exec_lo, exec_lo, s4
	s_delay_alu instid0(SALU_CYCLE_1)
	s_mov_b32 s0, exec_lo
.LBB3_483:
	s_or_b32 exec_lo, exec_lo, s2
	s_delay_alu instid0(SALU_CYCLE_1)
	s_and_not1_b32 s2, s19, exec_lo
	s_and_b32 s1, s1, exec_lo
	s_and_b32 s20, s0, exec_lo
	s_or_b32 s21, s2, s1
.LBB3_484:
	s_and_not1_saveexec_b32 s18, s18
	s_cbranch_execz .LBB3_486
; %bb.485:
	s_get_pc_i64 s[0:1]
	s_add_nc_u64 s[0:1], s[0:1], .str.20@rel64+4
	s_get_pc_i64 s[2:3]
	s_add_nc_u64 s[2:3], s[2:3], .str.16@rel64+4
	s_get_pc_i64 s[4:5]
	s_add_nc_u64 s[4:5], s[4:5], __PRETTY_FUNCTION__._ZN3sop13minatoIsopRecEPKjS1_iPNS_3SopEP7VecsMemIjLi8192EE@rel64+4
	v_dual_mov_b32 v0, s0 :: v_dual_mov_b32 v1, s1
	v_dual_mov_b32 v2, s2 :: v_dual_mov_b32 v3, s3
	;; [unrolled: 1-line block ×3, first 2 shown]
	v_mov_b32_e32 v6, s5
	s_get_pc_i64 s[6:7]
	s_add_nc_u64 s[6:7], s[6:7], __assert_fail@rel64+4
	s_mov_b64 s[8:9], s[34:35]
	s_swap_pc_i64 s[30:31], s[6:7]
	s_mov_b64 s[8:9], s[34:35]
	s_or_b32 s21, s21, exec_lo
.LBB3_486:
	s_or_b32 exec_lo, exec_lo, s18
	s_delay_alu instid0(SALU_CYCLE_1)
	s_and_not1_b32 s0, s19, exec_lo
	s_and_b32 s1, s21, exec_lo
	s_and_b32 s48, s20, exec_lo
	s_or_b32 s19, s0, s1
.LBB3_487:
	s_or_b32 exec_lo, exec_lo, s17
	s_delay_alu instid0(SALU_CYCLE_1)
	s_and_not1_b32 s0, s69, exec_lo
	s_and_b32 s1, s19, exec_lo
	s_and_b32 s71, s48, exec_lo
	s_or_b32 s80, s0, s1
                                        ; implicit-def: $vgpr46_vgpr47
                                        ; implicit-def: $vgpr44_vgpr45
                                        ; implicit-def: $vgpr72
                                        ; implicit-def: $vgpr55
.LBB3_488:
	s_and_not1_saveexec_b32 s81, s37
	s_cbranch_execz .LBB3_497
; %bb.489:
	flat_load_b32 v0, v[46:47]
	flat_load_b32 v1, v[44:45]
	v_dual_mov_b32 v2, v55 :: v_dual_mov_b32 v3, v72
	v_dual_mov_b32 v4, v73 :: v_dual_mov_b32 v5, v62
	v_mov_b32_e32 v6, v63
	s_get_pc_i64 s[0:1]
	s_add_nc_u64 s[0:1], s[0:1], _ZN3sop14minatoIsop5RecEjjiPNS_3SopEP7VecsMemIjLi8192EE@rel64+4
	s_mov_b64 s[54:55], s[8:9]
	s_swap_pc_i64 s[30:31], s[0:1]
	s_wait_xcnt 0x0
	s_and_saveexec_b32 s0, s68
	s_cbranch_execz .LBB3_496
; %bb.490:
	s_mov_b32 s1, exec_lo
	v_cmpx_ne_u32_e32 1, v74
	s_xor_b32 s1, exec_lo, s1
	s_cbranch_execz .LBB3_494
; %bb.491:
	v_mov_b64_e32 v[2:3], v[42:43]
	v_and_b32_e32 v4, 0x7ffffffe, v74
	v_mov_b32_e32 v1, v0
	s_mov_b32 s2, 0
.LBB3_492:                              ; =>This Inner Loop Header: Depth=1
	s_delay_alu instid0(VALU_DEP_2)
	v_add_nc_u32_e32 v4, -2, v4
	flat_store_b64 v[2:3], v[0:1]
	s_wait_xcnt 0x0
	v_add_nc_u64_e32 v[2:3], 8, v[2:3]
	v_cmp_eq_u32_e32 vcc_lo, 0, v4
	s_or_b32 s2, vcc_lo, s2
	s_delay_alu instid0(SALU_CYCLE_1)
	s_and_not1_b32 exec_lo, exec_lo, s2
	s_cbranch_execnz .LBB3_492
; %bb.493:
	s_or_b32 exec_lo, exec_lo, s2
                                        ; implicit-def: $vgpr0
.LBB3_494:
	s_and_not1_saveexec_b32 s1, s1
	s_cbranch_execz .LBB3_496
; %bb.495:
	flat_store_b32 v[42:43], v0
.LBB3_496:
	s_wait_xcnt 0x0
	s_or_b32 exec_lo, exec_lo, s0
	s_delay_alu instid0(SALU_CYCLE_1)
	s_or_b32 s71, s71, exec_lo
	s_mov_b64 s[8:9], s[54:55]
.LBB3_497:
	s_or_b32 exec_lo, exec_lo, s81
	s_delay_alu instid0(SALU_CYCLE_1) | instskip(SKIP_1) | instid1(SALU_CYCLE_1)
	s_and_not1_b32 s0, s69, exec_lo
	s_and_b32 s1, s80, exec_lo
	s_or_b32 s69, s0, s1
	s_and_b32 s0, s71, exec_lo
.LBB3_498:
	s_or_b32 exec_lo, exec_lo, s70
	s_delay_alu instid0(SALU_CYCLE_1)
	s_and_not1_b32 s1, s51, exec_lo
	s_and_b32 s2, s69, exec_lo
	s_and_b32 s17, s0, exec_lo
	s_or_b32 s20, s1, s2
                                        ; implicit-def: $vgpr72_vgpr73
                                        ; implicit-def: $vgpr62_vgpr63
                                        ; implicit-def: $vgpr74
.LBB3_499:
	s_and_not1_saveexec_b32 s21, s67
	s_cbranch_execz .LBB3_647
; %bb.500:
	v_mov_b64_e32 v[0:1], 0x100000000
	s_mov_b32 s22, s17
	s_mov_b32 s0, exec_lo
	flat_store_b64 v[72:73], v[0:1]
	flat_load_b32 v0, v[62:63]
	s_wait_loadcnt_dscnt 0x0
	v_cmpx_gt_i32_e32 0x2000, v0
	s_xor_b32 s0, exec_lo, s0
	s_cbranch_execz .LBB3_510
; %bb.501:
	v_ashrrev_i32_e32 v1, 31, v0
	s_mov_b32 s1, exec_lo
	s_delay_alu instid0(VALU_DEP_1) | instskip(SKIP_1) | instid1(VALU_DEP_2)
	v_lshl_add_u64 v[2:3], v[0:1], 2, v[62:63]
	v_dual_mov_b32 v1, 0 :: v_dual_add_nc_u32 v0, 1, v0
	v_add_nc_u64_e32 v[4:5], 4, v[2:3]
	flat_store_b32 v[62:63], v0
	flat_store_b64 v[72:73], v[4:5] offset:8
	flat_store_b32 v[2:3], v1 offset:4
	s_wait_xcnt 0x0
	v_cmpx_lt_i32_e32 0, v74
	s_cbranch_execz .LBB3_509
; %bb.502:
	s_mov_b32 s2, exec_lo
	v_cmpx_ne_u32_e32 1, v74
	s_xor_b32 s2, exec_lo, s2
	s_cbranch_execz .LBB3_506
; %bb.503:
	v_mov_b64_e32 v[0:1], -1
	v_and_b32_e32 v4, 0x7ffffffe, v74
	v_dual_mov_b32 v3, 0 :: v_dual_add_nc_u32 v2, -1, v74
	s_mov_b32 s3, 0
.LBB3_504:                              ; =>This Inner Loop Header: Depth=1
	s_delay_alu instid0(VALU_DEP_2) | instskip(NEXT) | instid1(VALU_DEP_2)
	v_add_nc_u32_e32 v4, -2, v4
	v_lshl_add_u64 v[6:7], v[2:3], 2, v[42:43]
	v_add_nc_u32_e32 v2, -2, v2
	s_delay_alu instid0(VALU_DEP_3)
	v_cmp_eq_u32_e32 vcc_lo, 0, v4
	flat_store_b64 v[6:7], v[0:1] offset:-4
	s_or_b32 s3, vcc_lo, s3
	s_wait_xcnt 0x0
	s_and_not1_b32 exec_lo, exec_lo, s3
	s_cbranch_execnz .LBB3_504
; %bb.505:
	s_or_b32 exec_lo, exec_lo, s3
.LBB3_506:
	s_and_not1_saveexec_b32 s2, s2
	s_cbranch_execz .LBB3_509
; %bb.507:
	v_mov_b64_e32 v[0:1], v[42:43]
	v_mov_b32_e32 v2, -1
	s_mov_b32 s2, 2
.LBB3_508:                              ; =>This Inner Loop Header: Depth=1
	flat_store_b32 v[0:1], v2
	s_wait_xcnt 0x0
	v_add_nc_u64_e32 v[0:1], 0x3fffffffc, v[0:1]
	s_add_co_i32 s2, s2, -1
	s_delay_alu instid0(SALU_CYCLE_1)
	s_cmp_lt_u32 s2, 2
	s_cbranch_scc0 .LBB3_508
.LBB3_509:
	s_or_b32 exec_lo, exec_lo, s1
	s_delay_alu instid0(SALU_CYCLE_1)
	s_or_b32 s22, s17, exec_lo
.LBB3_510:
	s_or_saveexec_b32 s23, s0
	s_mov_b32 s0, s20
	s_xor_b32 exec_lo, exec_lo, s23
	s_cbranch_execz .LBB3_646
; %bb.511:
	s_load_b64 s[2:3], s[8:9], 0x50
	v_mbcnt_lo_u32_b32 v32, -1, 0
	v_mov_b64_e32 v[2:3], 0
	s_delay_alu instid0(VALU_DEP_2) | instskip(NEXT) | instid1(VALU_DEP_1)
	v_readfirstlane_b32 s0, v32
	v_cmp_eq_u32_e64 s0, s0, v32
	s_and_saveexec_b32 s1, s0
	s_cbranch_execz .LBB3_517
; %bb.512:
	v_mov_b32_e32 v0, 0
	s_mov_b32 s4, exec_lo
	s_wait_kmcnt 0x0
	global_load_b64 v[4:5], v0, s[2:3] offset:24 scope:SCOPE_SYS
	s_wait_loadcnt 0x0
	global_inv scope:SCOPE_SYS
	s_clause 0x1
	global_load_b64 v[2:3], v0, s[2:3] offset:40
	global_load_b64 v[6:7], v0, s[2:3]
	s_wait_loadcnt 0x1
	v_and_b32_e32 v2, v2, v4
	v_and_b32_e32 v3, v3, v5
	s_delay_alu instid0(VALU_DEP_1) | instskip(SKIP_1) | instid1(VALU_DEP_1)
	v_mul_u64_e32 v[2:3], 24, v[2:3]
	s_wait_loadcnt 0x0
	v_add_nc_u64_e32 v[2:3], v[6:7], v[2:3]
	global_load_b64 v[2:3], v[2:3], off scope:SCOPE_SYS
	s_wait_xcnt 0x0
	s_wait_loadcnt 0x0
	global_atomic_cmpswap_b64 v[2:3], v0, v[2:5], s[2:3] offset:24 th:TH_ATOMIC_RETURN scope:SCOPE_SYS
	s_wait_loadcnt 0x0
	global_inv scope:SCOPE_SYS
	s_wait_xcnt 0x0
	v_cmpx_ne_u64_e64 v[2:3], v[4:5]
	s_cbranch_execz .LBB3_516
; %bb.513:
	s_mov_b32 s5, 0
.LBB3_514:                              ; =>This Inner Loop Header: Depth=1
	s_sleep 1
	s_clause 0x1
	global_load_b64 v[6:7], v0, s[2:3] offset:40
	global_load_b64 v[8:9], v0, s[2:3]
	v_mov_b64_e32 v[4:5], v[2:3]
	s_wait_loadcnt 0x1
	s_delay_alu instid0(VALU_DEP_1) | instskip(SKIP_1) | instid1(VALU_DEP_1)
	v_and_b32_e32 v1, v6, v4
	s_wait_loadcnt 0x0
	v_mad_nc_u64_u32 v[2:3], v1, 24, v[8:9]
	s_delay_alu instid0(VALU_DEP_3) | instskip(NEXT) | instid1(VALU_DEP_1)
	v_and_b32_e32 v1, v7, v5
	v_mad_u32 v3, v1, 24, v3
	global_load_b64 v[2:3], v[2:3], off scope:SCOPE_SYS
	s_wait_xcnt 0x0
	s_wait_loadcnt 0x0
	global_atomic_cmpswap_b64 v[2:3], v0, v[2:5], s[2:3] offset:24 th:TH_ATOMIC_RETURN scope:SCOPE_SYS
	s_wait_loadcnt 0x0
	global_inv scope:SCOPE_SYS
	v_cmp_eq_u64_e32 vcc_lo, v[2:3], v[4:5]
	s_or_b32 s5, vcc_lo, s5
	s_wait_xcnt 0x0
	s_and_not1_b32 exec_lo, exec_lo, s5
	s_cbranch_execnz .LBB3_514
; %bb.515:
	s_or_b32 exec_lo, exec_lo, s5
.LBB3_516:
	s_delay_alu instid0(SALU_CYCLE_1)
	s_or_b32 exec_lo, exec_lo, s4
.LBB3_517:
	s_delay_alu instid0(SALU_CYCLE_1)
	s_or_b32 exec_lo, exec_lo, s1
	v_readfirstlane_b32 s4, v2
	v_mov_b32_e32 v1, 0
	v_readfirstlane_b32 s5, v3
	s_mov_b32 s1, exec_lo
	s_wait_kmcnt 0x0
	s_clause 0x1
	global_load_b64 v[8:9], v1, s[2:3] offset:40
	global_load_b128 v[4:7], v1, s[2:3]
	s_wait_loadcnt 0x1
	v_and_b32_e32 v10, s4, v8
	v_and_b32_e32 v11, s5, v9
	s_delay_alu instid0(VALU_DEP_1) | instskip(SKIP_1) | instid1(VALU_DEP_1)
	v_mul_u64_e32 v[2:3], 24, v[10:11]
	s_wait_loadcnt 0x0
	v_add_nc_u64_e32 v[8:9], v[4:5], v[2:3]
	s_wait_xcnt 0x0
	s_and_saveexec_b32 s6, s0
	s_cbranch_execz .LBB3_519
; %bb.518:
	v_mov_b64_e32 v[2:3], 0x100000002
	v_mov_b32_e32 v0, s1
	global_store_b128 v[8:9], v[0:3], off offset:8
.LBB3_519:
	s_wait_xcnt 0x0
	s_or_b32 exec_lo, exec_lo, s6
	v_lshlrev_b64_e32 v[2:3], 12, v[10:11]
	s_mov_b32 s12, 0
	v_dual_lshlrev_b32 v0, 6, v32 :: v_dual_mov_b32 v10, 33
	s_mov_b32 s14, s12
	s_mov_b32 s15, s12
	;; [unrolled: 1-line block ×3, first 2 shown]
	s_delay_alu instid0(VALU_DEP_2)
	v_add_nc_u64_e32 v[6:7], v[6:7], v[2:3]
	v_mov_b64_e32 v[16:17], s[14:15]
	v_mov_b64_e32 v[14:15], s[12:13]
	v_dual_mov_b32 v11, v1 :: v_dual_mov_b32 v12, v1
	v_mov_b32_e32 v13, v1
	v_readfirstlane_b32 s6, v6
	v_readfirstlane_b32 s7, v7
	s_clause 0x3
	global_store_b128 v0, v[10:13], s[6:7]
	global_store_b128 v0, v[14:17], s[6:7] offset:16
	global_store_b128 v0, v[14:17], s[6:7] offset:32
	;; [unrolled: 1-line block ×3, first 2 shown]
	s_wait_xcnt 0x0
	s_and_saveexec_b32 s1, s0
	s_cbranch_execz .LBB3_527
; %bb.520:
	v_dual_mov_b32 v12, 0 :: v_dual_mov_b32 v15, s5
	s_mov_b32 s6, exec_lo
	s_clause 0x1
	global_load_b64 v[16:17], v12, s[2:3] offset:32 scope:SCOPE_SYS
	global_load_b64 v[2:3], v12, s[2:3] offset:40
	s_wait_loadcnt 0x0
	v_dual_mov_b32 v14, s4 :: v_dual_bitop2_b32 v3, s5, v3 bitop3:0x40
	v_and_b32_e32 v2, s4, v2
	s_delay_alu instid0(VALU_DEP_1) | instskip(NEXT) | instid1(VALU_DEP_1)
	v_mul_u64_e32 v[2:3], 24, v[2:3]
	v_add_nc_u64_e32 v[10:11], v[4:5], v[2:3]
	global_store_b64 v[10:11], v[16:17], off
	global_wb scope:SCOPE_SYS
	s_wait_storecnt 0x0
	s_wait_xcnt 0x0
	global_atomic_cmpswap_b64 v[4:5], v12, v[14:17], s[2:3] offset:32 th:TH_ATOMIC_RETURN scope:SCOPE_SYS
	s_wait_loadcnt 0x0
	v_cmpx_ne_u64_e64 v[4:5], v[16:17]
	s_cbranch_execz .LBB3_523
; %bb.521:
	s_mov_b32 s7, 0
.LBB3_522:                              ; =>This Inner Loop Header: Depth=1
	v_dual_mov_b32 v2, s4 :: v_dual_mov_b32 v3, s5
	s_sleep 1
	global_store_b64 v[10:11], v[4:5], off
	global_wb scope:SCOPE_SYS
	s_wait_storecnt 0x0
	s_wait_xcnt 0x0
	global_atomic_cmpswap_b64 v[2:3], v12, v[2:5], s[2:3] offset:32 th:TH_ATOMIC_RETURN scope:SCOPE_SYS
	s_wait_loadcnt 0x0
	v_cmp_eq_u64_e32 vcc_lo, v[2:3], v[4:5]
	v_mov_b64_e32 v[4:5], v[2:3]
	s_or_b32 s7, vcc_lo, s7
	s_delay_alu instid0(SALU_CYCLE_1)
	s_and_not1_b32 exec_lo, exec_lo, s7
	s_cbranch_execnz .LBB3_522
.LBB3_523:
	s_or_b32 exec_lo, exec_lo, s6
	v_mov_b32_e32 v5, 0
	s_mov_b32 s7, exec_lo
	s_mov_b32 s6, exec_lo
	v_mbcnt_lo_u32_b32 v4, s7, 0
	global_load_b64 v[2:3], v5, s[2:3] offset:16
	s_wait_xcnt 0x0
	v_cmpx_eq_u32_e32 0, v4
	s_cbranch_execz .LBB3_525
; %bb.524:
	s_bcnt1_i32_b32 s7, s7
	s_delay_alu instid0(SALU_CYCLE_1)
	v_mov_b32_e32 v4, s7
	global_wb scope:SCOPE_SYS
	s_wait_loadcnt 0x0
	s_wait_storecnt 0x0
	global_atomic_add_u64 v[2:3], v[4:5], off offset:8 scope:SCOPE_SYS
.LBB3_525:
	s_wait_xcnt 0x0
	s_or_b32 exec_lo, exec_lo, s6
	s_wait_loadcnt 0x0
	global_load_b64 v[4:5], v[2:3], off offset:16
	s_wait_loadcnt 0x0
	v_cmp_eq_u64_e32 vcc_lo, 0, v[4:5]
	s_cbranch_vccnz .LBB3_527
; %bb.526:
	global_load_b32 v2, v[2:3], off offset:24
	s_wait_xcnt 0x0
	v_mov_b32_e32 v3, 0
	s_wait_loadcnt 0x0
	v_readfirstlane_b32 s6, v2
	global_wb scope:SCOPE_SYS
	s_wait_storecnt 0x0
	global_store_b64 v[4:5], v[2:3], off scope:SCOPE_SYS
	s_and_b32 m0, s6, 0xffffff
	s_sendmsg sendmsg(MSG_INTERRUPT)
.LBB3_527:
	s_wait_xcnt 0x0
	s_or_b32 exec_lo, exec_lo, s1
	v_add_nc_u64_e32 v[2:3], v[6:7], v[0:1]
	s_branch .LBB3_531
.LBB3_528:                              ;   in Loop: Header=BB3_531 Depth=1
	s_wait_xcnt 0x0
	s_or_b32 exec_lo, exec_lo, s1
	s_delay_alu instid0(VALU_DEP_1)
	v_readfirstlane_b32 s1, v1
	s_cmp_eq_u32 s1, 0
	s_cbranch_scc1 .LBB3_530
; %bb.529:                              ;   in Loop: Header=BB3_531 Depth=1
	s_sleep 1
	s_cbranch_execnz .LBB3_531
	s_branch .LBB3_533
.LBB3_530:
	s_branch .LBB3_533
.LBB3_531:                              ; =>This Inner Loop Header: Depth=1
	v_mov_b32_e32 v1, 1
	s_and_saveexec_b32 s1, s0
	s_cbranch_execz .LBB3_528
; %bb.532:                              ;   in Loop: Header=BB3_531 Depth=1
	global_load_b32 v1, v[8:9], off offset:20 scope:SCOPE_SYS
	s_wait_loadcnt 0x0
	global_inv scope:SCOPE_SYS
	v_and_b32_e32 v1, 1, v1
	s_branch .LBB3_528
.LBB3_533:
	global_load_b64 v[2:3], v[2:3], off
	s_wait_xcnt 0x0
	s_and_saveexec_b32 s6, s0
	s_cbranch_execz .LBB3_537
; %bb.534:
	v_mov_b32_e32 v1, 0
	s_clause 0x2
	global_load_b64 v[4:5], v1, s[2:3] offset:40
	global_load_b64 v[12:13], v1, s[2:3] offset:24 scope:SCOPE_SYS
	global_load_b64 v[6:7], v1, s[2:3]
	s_wait_loadcnt 0x2
	v_readfirstlane_b32 s10, v4
	v_readfirstlane_b32 s11, v5
	s_add_nc_u64 s[0:1], s[10:11], 1
	s_delay_alu instid0(SALU_CYCLE_1) | instskip(NEXT) | instid1(SALU_CYCLE_1)
	s_add_nc_u64 s[4:5], s[0:1], s[4:5]
	s_cmp_eq_u64 s[4:5], 0
	s_cselect_b32 s1, s1, s5
	s_cselect_b32 s0, s0, s4
	v_mov_b32_e32 v11, s1
	s_and_b64 s[4:5], s[0:1], s[10:11]
	v_mov_b32_e32 v10, s0
	s_mul_u64 s[4:5], s[4:5], 24
	s_wait_loadcnt 0x0
	v_add_nc_u64_e32 v[8:9], s[4:5], v[6:7]
	global_store_b64 v[8:9], v[12:13], off
	global_wb scope:SCOPE_SYS
	s_wait_storecnt 0x0
	s_wait_xcnt 0x0
	global_atomic_cmpswap_b64 v[6:7], v1, v[10:13], s[2:3] offset:24 th:TH_ATOMIC_RETURN scope:SCOPE_SYS
	s_wait_loadcnt 0x0
	v_cmp_ne_u64_e32 vcc_lo, v[6:7], v[12:13]
	s_and_b32 exec_lo, exec_lo, vcc_lo
	s_cbranch_execz .LBB3_537
; %bb.535:
	s_mov_b32 s4, 0
.LBB3_536:                              ; =>This Inner Loop Header: Depth=1
	v_dual_mov_b32 v4, s0 :: v_dual_mov_b32 v5, s1
	s_sleep 1
	global_store_b64 v[8:9], v[6:7], off
	global_wb scope:SCOPE_SYS
	s_wait_storecnt 0x0
	s_wait_xcnt 0x0
	global_atomic_cmpswap_b64 v[4:5], v1, v[4:7], s[2:3] offset:24 th:TH_ATOMIC_RETURN scope:SCOPE_SYS
	s_wait_loadcnt 0x0
	v_cmp_eq_u64_e32 vcc_lo, v[4:5], v[6:7]
	v_mov_b64_e32 v[6:7], v[4:5]
	s_or_b32 s4, vcc_lo, s4
	s_delay_alu instid0(SALU_CYCLE_1)
	s_and_not1_b32 exec_lo, exec_lo, s4
	s_cbranch_execnz .LBB3_536
.LBB3_537:
	s_or_b32 exec_lo, exec_lo, s6
	s_get_pc_i64 s[4:5]
	s_add_nc_u64 s[4:5], s[4:5], .str.28@rel64+4
	s_delay_alu instid0(SALU_CYCLE_1)
	s_cmp_lg_u64 s[4:5], 0
	s_cbranch_scc0 .LBB3_616
; %bb.538:
	v_mov_b64_e32 v[6:7], 0x100000002
	s_wait_loadcnt 0x0
	v_dual_mov_b32 v9, v3 :: v_dual_bitop2_b32 v8, -3, v2 bitop3:0x40
	v_mov_b32_e32 v5, 0
	s_mov_b64 s[6:7], 35
	s_branch .LBB3_540
.LBB3_539:                              ;   in Loop: Header=BB3_540 Depth=1
	s_or_b32 exec_lo, exec_lo, s14
	s_sub_nc_u64 s[6:7], s[6:7], s[10:11]
	s_add_nc_u64 s[4:5], s[4:5], s[10:11]
	s_cmp_lg_u64 s[6:7], 0
	s_cbranch_scc0 .LBB3_615
.LBB3_540:                              ; =>This Loop Header: Depth=1
                                        ;     Child Loop BB3_543 Depth 2
                                        ;     Child Loop BB3_550 Depth 2
	;; [unrolled: 1-line block ×11, first 2 shown]
	s_wait_loadcnt 0x0
	v_min_u64 v[10:11], s[6:7], 56
	v_cmp_gt_u64_e64 s0, s[6:7], 7
	s_and_b32 vcc_lo, exec_lo, s0
	v_readfirstlane_b32 s10, v10
	v_readfirstlane_b32 s11, v11
	s_cbranch_vccnz .LBB3_545
; %bb.541:                              ;   in Loop: Header=BB3_540 Depth=1
	v_mov_b64_e32 v[10:11], 0
	s_cmp_eq_u64 s[6:7], 0
	s_cbranch_scc1 .LBB3_544
; %bb.542:                              ;   in Loop: Header=BB3_540 Depth=1
	s_mov_b64 s[0:1], 0
	s_mov_b64 s[12:13], 0
.LBB3_543:                              ;   Parent Loop BB3_540 Depth=1
                                        ; =>  This Inner Loop Header: Depth=2
	s_wait_xcnt 0x0
	s_add_nc_u64 s[14:15], s[4:5], s[12:13]
	s_add_nc_u64 s[12:13], s[12:13], 1
	global_load_u8 v1, v5, s[14:15]
	s_cmp_lg_u32 s10, s12
	s_wait_loadcnt 0x0
	v_and_b32_e32 v4, 0xffff, v1
	s_delay_alu instid0(VALU_DEP_1) | instskip(SKIP_1) | instid1(VALU_DEP_1)
	v_lshlrev_b64_e32 v[12:13], s0, v[4:5]
	s_add_nc_u64 s[0:1], s[0:1], 8
	v_or_b32_e32 v10, v12, v10
	s_delay_alu instid0(VALU_DEP_2)
	v_or_b32_e32 v11, v13, v11
	s_cbranch_scc1 .LBB3_543
.LBB3_544:                              ;   in Loop: Header=BB3_540 Depth=1
	s_mov_b64 s[12:13], s[4:5]
	s_mov_b32 s16, 0
	s_cbranch_execz .LBB3_546
	s_branch .LBB3_547
.LBB3_545:                              ;   in Loop: Header=BB3_540 Depth=1
	s_add_nc_u64 s[12:13], s[4:5], 8
	s_mov_b32 s16, 0
.LBB3_546:                              ;   in Loop: Header=BB3_540 Depth=1
	global_load_b64 v[10:11], v5, s[4:5]
	s_add_co_i32 s16, s10, -8
.LBB3_547:                              ;   in Loop: Header=BB3_540 Depth=1
	s_delay_alu instid0(SALU_CYCLE_1)
	s_cmp_gt_u32 s16, 7
	s_cbranch_scc1 .LBB3_552
; %bb.548:                              ;   in Loop: Header=BB3_540 Depth=1
	v_mov_b64_e32 v[12:13], 0
	s_cmp_eq_u32 s16, 0
	s_cbranch_scc1 .LBB3_551
; %bb.549:                              ;   in Loop: Header=BB3_540 Depth=1
	s_mov_b64 s[0:1], 0
	s_wait_xcnt 0x0
	s_mov_b64 s[14:15], 0
.LBB3_550:                              ;   Parent Loop BB3_540 Depth=1
                                        ; =>  This Inner Loop Header: Depth=2
	s_wait_xcnt 0x0
	s_add_nc_u64 s[18:19], s[12:13], s[14:15]
	s_add_nc_u64 s[14:15], s[14:15], 1
	global_load_u8 v1, v5, s[18:19]
	s_cmp_lg_u32 s16, s14
	s_wait_loadcnt 0x0
	v_and_b32_e32 v4, 0xffff, v1
	s_delay_alu instid0(VALU_DEP_1) | instskip(SKIP_1) | instid1(VALU_DEP_1)
	v_lshlrev_b64_e32 v[14:15], s0, v[4:5]
	s_add_nc_u64 s[0:1], s[0:1], 8
	v_or_b32_e32 v12, v14, v12
	s_delay_alu instid0(VALU_DEP_2)
	v_or_b32_e32 v13, v15, v13
	s_cbranch_scc1 .LBB3_550
.LBB3_551:                              ;   in Loop: Header=BB3_540 Depth=1
	s_wait_xcnt 0x0
	s_mov_b64 s[0:1], s[12:13]
	s_mov_b32 s18, 0
	s_cbranch_execz .LBB3_553
	s_branch .LBB3_554
.LBB3_552:                              ;   in Loop: Header=BB3_540 Depth=1
	s_add_nc_u64 s[0:1], s[12:13], 8
	s_wait_xcnt 0x0
                                        ; implicit-def: $vgpr12_vgpr13
	s_mov_b32 s18, 0
.LBB3_553:                              ;   in Loop: Header=BB3_540 Depth=1
	global_load_b64 v[12:13], v5, s[12:13]
	s_add_co_i32 s18, s16, -8
.LBB3_554:                              ;   in Loop: Header=BB3_540 Depth=1
	s_delay_alu instid0(SALU_CYCLE_1)
	s_cmp_gt_u32 s18, 7
	s_cbranch_scc1 .LBB3_559
; %bb.555:                              ;   in Loop: Header=BB3_540 Depth=1
	v_mov_b64_e32 v[14:15], 0
	s_cmp_eq_u32 s18, 0
	s_cbranch_scc1 .LBB3_558
; %bb.556:                              ;   in Loop: Header=BB3_540 Depth=1
	s_wait_xcnt 0x0
	s_mov_b64 s[12:13], 0
	s_mov_b64 s[14:15], 0
.LBB3_557:                              ;   Parent Loop BB3_540 Depth=1
                                        ; =>  This Inner Loop Header: Depth=2
	s_wait_xcnt 0x0
	s_add_nc_u64 s[24:25], s[0:1], s[14:15]
	s_add_nc_u64 s[14:15], s[14:15], 1
	global_load_u8 v1, v5, s[24:25]
	s_cmp_lg_u32 s18, s14
	s_wait_loadcnt 0x0
	v_and_b32_e32 v4, 0xffff, v1
	s_delay_alu instid0(VALU_DEP_1) | instskip(SKIP_1) | instid1(VALU_DEP_1)
	v_lshlrev_b64_e32 v[16:17], s12, v[4:5]
	s_add_nc_u64 s[12:13], s[12:13], 8
	v_or_b32_e32 v14, v16, v14
	s_delay_alu instid0(VALU_DEP_2)
	v_or_b32_e32 v15, v17, v15
	s_cbranch_scc1 .LBB3_557
.LBB3_558:                              ;   in Loop: Header=BB3_540 Depth=1
	s_wait_xcnt 0x0
	s_mov_b64 s[12:13], s[0:1]
	s_mov_b32 s16, 0
	s_cbranch_execz .LBB3_560
	s_branch .LBB3_561
.LBB3_559:                              ;   in Loop: Header=BB3_540 Depth=1
	s_wait_xcnt 0x0
	s_add_nc_u64 s[12:13], s[0:1], 8
	s_mov_b32 s16, 0
.LBB3_560:                              ;   in Loop: Header=BB3_540 Depth=1
	global_load_b64 v[14:15], v5, s[0:1]
	s_add_co_i32 s16, s18, -8
.LBB3_561:                              ;   in Loop: Header=BB3_540 Depth=1
	s_delay_alu instid0(SALU_CYCLE_1)
	s_cmp_gt_u32 s16, 7
	s_cbranch_scc1 .LBB3_566
; %bb.562:                              ;   in Loop: Header=BB3_540 Depth=1
	v_mov_b64_e32 v[16:17], 0
	s_cmp_eq_u32 s16, 0
	s_cbranch_scc1 .LBB3_565
; %bb.563:                              ;   in Loop: Header=BB3_540 Depth=1
	s_wait_xcnt 0x0
	s_mov_b64 s[0:1], 0
	s_mov_b64 s[14:15], 0
.LBB3_564:                              ;   Parent Loop BB3_540 Depth=1
                                        ; =>  This Inner Loop Header: Depth=2
	s_wait_xcnt 0x0
	s_add_nc_u64 s[18:19], s[12:13], s[14:15]
	s_add_nc_u64 s[14:15], s[14:15], 1
	global_load_u8 v1, v5, s[18:19]
	s_cmp_lg_u32 s16, s14
	s_wait_loadcnt 0x0
	v_and_b32_e32 v4, 0xffff, v1
	s_delay_alu instid0(VALU_DEP_1) | instskip(SKIP_1) | instid1(VALU_DEP_1)
	v_lshlrev_b64_e32 v[18:19], s0, v[4:5]
	s_add_nc_u64 s[0:1], s[0:1], 8
	v_or_b32_e32 v16, v18, v16
	s_delay_alu instid0(VALU_DEP_2)
	v_or_b32_e32 v17, v19, v17
	s_cbranch_scc1 .LBB3_564
.LBB3_565:                              ;   in Loop: Header=BB3_540 Depth=1
	s_wait_xcnt 0x0
	s_mov_b64 s[0:1], s[12:13]
	s_mov_b32 s18, 0
	s_cbranch_execz .LBB3_567
	s_branch .LBB3_568
.LBB3_566:                              ;   in Loop: Header=BB3_540 Depth=1
	s_wait_xcnt 0x0
	s_add_nc_u64 s[0:1], s[12:13], 8
                                        ; implicit-def: $vgpr16_vgpr17
	s_mov_b32 s18, 0
.LBB3_567:                              ;   in Loop: Header=BB3_540 Depth=1
	global_load_b64 v[16:17], v5, s[12:13]
	s_add_co_i32 s18, s16, -8
.LBB3_568:                              ;   in Loop: Header=BB3_540 Depth=1
	s_delay_alu instid0(SALU_CYCLE_1)
	s_cmp_gt_u32 s18, 7
	s_cbranch_scc1 .LBB3_573
; %bb.569:                              ;   in Loop: Header=BB3_540 Depth=1
	v_mov_b64_e32 v[18:19], 0
	s_cmp_eq_u32 s18, 0
	s_cbranch_scc1 .LBB3_572
; %bb.570:                              ;   in Loop: Header=BB3_540 Depth=1
	s_wait_xcnt 0x0
	s_mov_b64 s[12:13], 0
	s_mov_b64 s[14:15], 0
.LBB3_571:                              ;   Parent Loop BB3_540 Depth=1
                                        ; =>  This Inner Loop Header: Depth=2
	s_wait_xcnt 0x0
	s_add_nc_u64 s[24:25], s[0:1], s[14:15]
	s_add_nc_u64 s[14:15], s[14:15], 1
	global_load_u8 v1, v5, s[24:25]
	s_cmp_lg_u32 s18, s14
	s_wait_loadcnt 0x0
	v_and_b32_e32 v4, 0xffff, v1
	s_delay_alu instid0(VALU_DEP_1) | instskip(SKIP_1) | instid1(VALU_DEP_1)
	v_lshlrev_b64_e32 v[20:21], s12, v[4:5]
	s_add_nc_u64 s[12:13], s[12:13], 8
	v_or_b32_e32 v18, v20, v18
	s_delay_alu instid0(VALU_DEP_2)
	v_or_b32_e32 v19, v21, v19
	s_cbranch_scc1 .LBB3_571
.LBB3_572:                              ;   in Loop: Header=BB3_540 Depth=1
	s_wait_xcnt 0x0
	s_mov_b64 s[12:13], s[0:1]
	s_mov_b32 s16, 0
	s_cbranch_execz .LBB3_574
	s_branch .LBB3_575
.LBB3_573:                              ;   in Loop: Header=BB3_540 Depth=1
	s_wait_xcnt 0x0
	s_add_nc_u64 s[12:13], s[0:1], 8
	s_mov_b32 s16, 0
.LBB3_574:                              ;   in Loop: Header=BB3_540 Depth=1
	global_load_b64 v[18:19], v5, s[0:1]
	s_add_co_i32 s16, s18, -8
.LBB3_575:                              ;   in Loop: Header=BB3_540 Depth=1
	s_delay_alu instid0(SALU_CYCLE_1)
	s_cmp_gt_u32 s16, 7
	s_cbranch_scc1 .LBB3_580
; %bb.576:                              ;   in Loop: Header=BB3_540 Depth=1
	v_mov_b64_e32 v[20:21], 0
	s_cmp_eq_u32 s16, 0
	s_cbranch_scc1 .LBB3_579
; %bb.577:                              ;   in Loop: Header=BB3_540 Depth=1
	s_wait_xcnt 0x0
	s_mov_b64 s[0:1], 0
	s_mov_b64 s[14:15], 0
.LBB3_578:                              ;   Parent Loop BB3_540 Depth=1
                                        ; =>  This Inner Loop Header: Depth=2
	s_wait_xcnt 0x0
	s_add_nc_u64 s[18:19], s[12:13], s[14:15]
	s_add_nc_u64 s[14:15], s[14:15], 1
	global_load_u8 v1, v5, s[18:19]
	s_cmp_lg_u32 s16, s14
	s_wait_loadcnt 0x0
	v_and_b32_e32 v4, 0xffff, v1
	s_delay_alu instid0(VALU_DEP_1) | instskip(SKIP_1) | instid1(VALU_DEP_1)
	v_lshlrev_b64_e32 v[22:23], s0, v[4:5]
	s_add_nc_u64 s[0:1], s[0:1], 8
	v_or_b32_e32 v20, v22, v20
	s_delay_alu instid0(VALU_DEP_2)
	v_or_b32_e32 v21, v23, v21
	s_cbranch_scc1 .LBB3_578
.LBB3_579:                              ;   in Loop: Header=BB3_540 Depth=1
	s_wait_xcnt 0x0
	s_mov_b64 s[0:1], s[12:13]
	s_mov_b32 s18, 0
	s_cbranch_execz .LBB3_581
	s_branch .LBB3_582
.LBB3_580:                              ;   in Loop: Header=BB3_540 Depth=1
	s_wait_xcnt 0x0
	s_add_nc_u64 s[0:1], s[12:13], 8
                                        ; implicit-def: $vgpr20_vgpr21
	s_mov_b32 s18, 0
.LBB3_581:                              ;   in Loop: Header=BB3_540 Depth=1
	global_load_b64 v[20:21], v5, s[12:13]
	s_add_co_i32 s18, s16, -8
.LBB3_582:                              ;   in Loop: Header=BB3_540 Depth=1
	s_delay_alu instid0(SALU_CYCLE_1)
	s_cmp_gt_u32 s18, 7
	s_cbranch_scc1 .LBB3_587
; %bb.583:                              ;   in Loop: Header=BB3_540 Depth=1
	v_mov_b64_e32 v[22:23], 0
	s_cmp_eq_u32 s18, 0
	s_cbranch_scc1 .LBB3_586
; %bb.584:                              ;   in Loop: Header=BB3_540 Depth=1
	s_wait_xcnt 0x0
	s_mov_b64 s[12:13], 0
	s_mov_b64 s[14:15], s[0:1]
.LBB3_585:                              ;   Parent Loop BB3_540 Depth=1
                                        ; =>  This Inner Loop Header: Depth=2
	global_load_u8 v1, v5, s[14:15]
	s_add_co_i32 s18, s18, -1
	s_wait_xcnt 0x0
	s_add_nc_u64 s[14:15], s[14:15], 1
	s_cmp_lg_u32 s18, 0
	s_wait_loadcnt 0x0
	v_and_b32_e32 v4, 0xffff, v1
	s_delay_alu instid0(VALU_DEP_1) | instskip(SKIP_1) | instid1(VALU_DEP_1)
	v_lshlrev_b64_e32 v[24:25], s12, v[4:5]
	s_add_nc_u64 s[12:13], s[12:13], 8
	v_or_b32_e32 v22, v24, v22
	s_delay_alu instid0(VALU_DEP_2)
	v_or_b32_e32 v23, v25, v23
	s_cbranch_scc1 .LBB3_585
.LBB3_586:                              ;   in Loop: Header=BB3_540 Depth=1
	s_wait_xcnt 0x0
	s_cbranch_execz .LBB3_588
	s_branch .LBB3_589
.LBB3_587:                              ;   in Loop: Header=BB3_540 Depth=1
	s_wait_xcnt 0x0
.LBB3_588:                              ;   in Loop: Header=BB3_540 Depth=1
	global_load_b64 v[22:23], v5, s[0:1]
.LBB3_589:                              ;   in Loop: Header=BB3_540 Depth=1
	s_wait_xcnt 0x0
	v_readfirstlane_b32 s0, v32
	v_mov_b64_e32 v[28:29], 0
	s_delay_alu instid0(VALU_DEP_2)
	v_cmp_eq_u32_e64 s0, s0, v32
	s_and_saveexec_b32 s1, s0
	s_cbranch_execz .LBB3_595
; %bb.590:                              ;   in Loop: Header=BB3_540 Depth=1
	global_load_b64 v[26:27], v5, s[2:3] offset:24 scope:SCOPE_SYS
	s_wait_loadcnt 0x0
	global_inv scope:SCOPE_SYS
	s_clause 0x1
	global_load_b64 v[24:25], v5, s[2:3] offset:40
	global_load_b64 v[28:29], v5, s[2:3]
	s_mov_b32 s12, exec_lo
	s_wait_loadcnt 0x1
	v_and_b32_e32 v24, v24, v26
	v_and_b32_e32 v25, v25, v27
	s_delay_alu instid0(VALU_DEP_1) | instskip(SKIP_1) | instid1(VALU_DEP_1)
	v_mul_u64_e32 v[24:25], 24, v[24:25]
	s_wait_loadcnt 0x0
	v_add_nc_u64_e32 v[24:25], v[28:29], v[24:25]
	global_load_b64 v[24:25], v[24:25], off scope:SCOPE_SYS
	s_wait_xcnt 0x0
	s_wait_loadcnt 0x0
	global_atomic_cmpswap_b64 v[28:29], v5, v[24:27], s[2:3] offset:24 th:TH_ATOMIC_RETURN scope:SCOPE_SYS
	s_wait_loadcnt 0x0
	global_inv scope:SCOPE_SYS
	s_wait_xcnt 0x0
	v_cmpx_ne_u64_e64 v[28:29], v[26:27]
	s_cbranch_execz .LBB3_594
; %bb.591:                              ;   in Loop: Header=BB3_540 Depth=1
	s_mov_b32 s13, 0
.LBB3_592:                              ;   Parent Loop BB3_540 Depth=1
                                        ; =>  This Inner Loop Header: Depth=2
	s_sleep 1
	s_clause 0x1
	global_load_b64 v[24:25], v5, s[2:3] offset:40
	global_load_b64 v[30:31], v5, s[2:3]
	v_mov_b64_e32 v[26:27], v[28:29]
	s_wait_loadcnt 0x1
	s_delay_alu instid0(VALU_DEP_1) | instskip(SKIP_1) | instid1(VALU_DEP_1)
	v_and_b32_e32 v1, v24, v26
	s_wait_loadcnt 0x0
	v_mad_nc_u64_u32 v[28:29], v1, 24, v[30:31]
	s_delay_alu instid0(VALU_DEP_3) | instskip(NEXT) | instid1(VALU_DEP_1)
	v_and_b32_e32 v1, v25, v27
	v_mad_u32 v29, v1, 24, v29
	global_load_b64 v[24:25], v[28:29], off scope:SCOPE_SYS
	s_wait_xcnt 0x0
	s_wait_loadcnt 0x0
	global_atomic_cmpswap_b64 v[28:29], v5, v[24:27], s[2:3] offset:24 th:TH_ATOMIC_RETURN scope:SCOPE_SYS
	s_wait_loadcnt 0x0
	global_inv scope:SCOPE_SYS
	v_cmp_eq_u64_e32 vcc_lo, v[28:29], v[26:27]
	s_or_b32 s13, vcc_lo, s13
	s_wait_xcnt 0x0
	s_and_not1_b32 exec_lo, exec_lo, s13
	s_cbranch_execnz .LBB3_592
; %bb.593:                              ;   in Loop: Header=BB3_540 Depth=1
	s_or_b32 exec_lo, exec_lo, s13
.LBB3_594:                              ;   in Loop: Header=BB3_540 Depth=1
	s_delay_alu instid0(SALU_CYCLE_1)
	s_or_b32 exec_lo, exec_lo, s12
.LBB3_595:                              ;   in Loop: Header=BB3_540 Depth=1
	s_delay_alu instid0(SALU_CYCLE_1)
	s_or_b32 exec_lo, exec_lo, s1
	s_clause 0x1
	global_load_b64 v[30:31], v5, s[2:3] offset:40
	global_load_b128 v[24:27], v5, s[2:3]
	v_readfirstlane_b32 s12, v28
	v_readfirstlane_b32 s13, v29
	s_mov_b32 s1, exec_lo
	s_wait_loadcnt 0x1
	v_and_b32_e32 v30, s12, v30
	v_and_b32_e32 v31, s13, v31
	s_delay_alu instid0(VALU_DEP_1) | instskip(SKIP_1) | instid1(VALU_DEP_1)
	v_mul_u64_e32 v[28:29], 24, v[30:31]
	s_wait_loadcnt 0x0
	v_add_nc_u64_e32 v[28:29], v[24:25], v[28:29]
	s_wait_xcnt 0x0
	s_and_saveexec_b32 s14, s0
	s_cbranch_execz .LBB3_597
; %bb.596:                              ;   in Loop: Header=BB3_540 Depth=1
	v_mov_b32_e32 v4, s1
	global_store_b128 v[28:29], v[4:7], off offset:8
.LBB3_597:                              ;   in Loop: Header=BB3_540 Depth=1
	s_wait_xcnt 0x0
	s_or_b32 exec_lo, exec_lo, s14
	v_cmp_gt_u64_e64 s1, s[6:7], 56
	v_lshlrev_b64_e32 v[30:31], 12, v[30:31]
	v_and_b32_e32 v1, 0xffffff1f, v8
	s_and_b32 s1, s1, exec_lo
	s_delay_alu instid0(VALU_DEP_2) | instskip(SKIP_4) | instid1(VALU_DEP_2)
	v_add_nc_u64_e32 v[26:27], v[26:27], v[30:31]
	s_cselect_b32 s1, 0, 2
	s_lshl_b32 s14, s10, 2
	v_or_b32_e32 v1, s1, v1
	s_add_co_i32 s1, s14, 28
	v_readfirstlane_b32 s14, v26
	s_delay_alu instid0(VALU_DEP_3) | instskip(NEXT) | instid1(VALU_DEP_3)
	v_readfirstlane_b32 s15, v27
	v_and_or_b32 v8, 0x1e0, s1, v1
	s_clause 0x3
	global_store_b128 v0, v[8:11], s[14:15]
	global_store_b128 v0, v[12:15], s[14:15] offset:16
	global_store_b128 v0, v[16:19], s[14:15] offset:32
	;; [unrolled: 1-line block ×3, first 2 shown]
	s_wait_xcnt 0x0
	s_and_saveexec_b32 s1, s0
	s_cbranch_execz .LBB3_605
; %bb.598:                              ;   in Loop: Header=BB3_540 Depth=1
	s_clause 0x1
	global_load_b64 v[16:17], v5, s[2:3] offset:32 scope:SCOPE_SYS
	global_load_b64 v[8:9], v5, s[2:3] offset:40
	s_mov_b32 s14, exec_lo
	v_dual_mov_b32 v14, s12 :: v_dual_mov_b32 v15, s13
	s_wait_loadcnt 0x0
	v_and_b32_e32 v9, s13, v9
	v_and_b32_e32 v8, s12, v8
	s_delay_alu instid0(VALU_DEP_1) | instskip(NEXT) | instid1(VALU_DEP_1)
	v_mul_u64_e32 v[8:9], 24, v[8:9]
	v_add_nc_u64_e32 v[12:13], v[24:25], v[8:9]
	global_store_b64 v[12:13], v[16:17], off
	global_wb scope:SCOPE_SYS
	s_wait_storecnt 0x0
	s_wait_xcnt 0x0
	global_atomic_cmpswap_b64 v[10:11], v5, v[14:17], s[2:3] offset:32 th:TH_ATOMIC_RETURN scope:SCOPE_SYS
	s_wait_loadcnt 0x0
	v_cmpx_ne_u64_e64 v[10:11], v[16:17]
	s_cbranch_execz .LBB3_601
; %bb.599:                              ;   in Loop: Header=BB3_540 Depth=1
	s_mov_b32 s15, 0
.LBB3_600:                              ;   Parent Loop BB3_540 Depth=1
                                        ; =>  This Inner Loop Header: Depth=2
	v_dual_mov_b32 v8, s12 :: v_dual_mov_b32 v9, s13
	s_sleep 1
	global_store_b64 v[12:13], v[10:11], off
	global_wb scope:SCOPE_SYS
	s_wait_storecnt 0x0
	s_wait_xcnt 0x0
	global_atomic_cmpswap_b64 v[8:9], v5, v[8:11], s[2:3] offset:32 th:TH_ATOMIC_RETURN scope:SCOPE_SYS
	s_wait_loadcnt 0x0
	v_cmp_eq_u64_e32 vcc_lo, v[8:9], v[10:11]
	v_mov_b64_e32 v[10:11], v[8:9]
	s_or_b32 s15, vcc_lo, s15
	s_delay_alu instid0(SALU_CYCLE_1)
	s_and_not1_b32 exec_lo, exec_lo, s15
	s_cbranch_execnz .LBB3_600
.LBB3_601:                              ;   in Loop: Header=BB3_540 Depth=1
	s_or_b32 exec_lo, exec_lo, s14
	global_load_b64 v[8:9], v5, s[2:3] offset:16
	s_mov_b32 s15, exec_lo
	s_mov_b32 s14, exec_lo
	v_mbcnt_lo_u32_b32 v1, s15, 0
	s_wait_xcnt 0x0
	s_delay_alu instid0(VALU_DEP_1)
	v_cmpx_eq_u32_e32 0, v1
	s_cbranch_execz .LBB3_603
; %bb.602:                              ;   in Loop: Header=BB3_540 Depth=1
	s_bcnt1_i32_b32 s15, s15
	s_delay_alu instid0(SALU_CYCLE_1)
	v_mov_b32_e32 v4, s15
	global_wb scope:SCOPE_SYS
	s_wait_loadcnt 0x0
	s_wait_storecnt 0x0
	global_atomic_add_u64 v[8:9], v[4:5], off offset:8 scope:SCOPE_SYS
.LBB3_603:                              ;   in Loop: Header=BB3_540 Depth=1
	s_wait_xcnt 0x0
	s_or_b32 exec_lo, exec_lo, s14
	s_wait_loadcnt 0x0
	global_load_b64 v[10:11], v[8:9], off offset:16
	s_wait_loadcnt 0x0
	v_cmp_eq_u64_e32 vcc_lo, 0, v[10:11]
	s_cbranch_vccnz .LBB3_605
; %bb.604:                              ;   in Loop: Header=BB3_540 Depth=1
	global_load_b32 v4, v[8:9], off offset:24
	s_wait_loadcnt 0x0
	v_readfirstlane_b32 s14, v4
	global_wb scope:SCOPE_SYS
	s_wait_storecnt 0x0
	s_wait_xcnt 0x0
	global_store_b64 v[10:11], v[4:5], off scope:SCOPE_SYS
	s_and_b32 m0, s14, 0xffffff
	s_sendmsg sendmsg(MSG_INTERRUPT)
.LBB3_605:                              ;   in Loop: Header=BB3_540 Depth=1
	s_wait_xcnt 0x0
	s_or_b32 exec_lo, exec_lo, s1
	v_mov_b32_e32 v1, v5
	s_delay_alu instid0(VALU_DEP_1)
	v_add_nc_u64_e32 v[8:9], v[26:27], v[0:1]
	s_branch .LBB3_609
.LBB3_606:                              ;   in Loop: Header=BB3_609 Depth=2
	s_wait_xcnt 0x0
	s_or_b32 exec_lo, exec_lo, s1
	s_delay_alu instid0(VALU_DEP_1)
	v_readfirstlane_b32 s1, v1
	s_cmp_eq_u32 s1, 0
	s_cbranch_scc1 .LBB3_608
; %bb.607:                              ;   in Loop: Header=BB3_609 Depth=2
	s_sleep 1
	s_cbranch_execnz .LBB3_609
	s_branch .LBB3_611
.LBB3_608:                              ;   in Loop: Header=BB3_540 Depth=1
	s_branch .LBB3_611
.LBB3_609:                              ;   Parent Loop BB3_540 Depth=1
                                        ; =>  This Inner Loop Header: Depth=2
	v_mov_b32_e32 v1, 1
	s_and_saveexec_b32 s1, s0
	s_cbranch_execz .LBB3_606
; %bb.610:                              ;   in Loop: Header=BB3_609 Depth=2
	global_load_b32 v1, v[28:29], off offset:20 scope:SCOPE_SYS
	s_wait_loadcnt 0x0
	global_inv scope:SCOPE_SYS
	v_and_b32_e32 v1, 1, v1
	s_branch .LBB3_606
.LBB3_611:                              ;   in Loop: Header=BB3_540 Depth=1
	global_load_b128 v[8:11], v[8:9], off
	s_wait_xcnt 0x0
	s_and_saveexec_b32 s14, s0
	s_cbranch_execz .LBB3_539
; %bb.612:                              ;   in Loop: Header=BB3_540 Depth=1
	s_wait_loadcnt 0x0
	s_clause 0x2
	global_load_b64 v[10:11], v5, s[2:3] offset:40
	global_load_b64 v[18:19], v5, s[2:3] offset:24 scope:SCOPE_SYS
	global_load_b64 v[12:13], v5, s[2:3]
	s_wait_loadcnt 0x2
	v_readfirstlane_b32 s18, v10
	v_readfirstlane_b32 s19, v11
	s_add_nc_u64 s[0:1], s[18:19], 1
	s_delay_alu instid0(SALU_CYCLE_1) | instskip(NEXT) | instid1(SALU_CYCLE_1)
	s_add_nc_u64 s[12:13], s[0:1], s[12:13]
	s_cmp_eq_u64 s[12:13], 0
	s_cselect_b32 s1, s1, s13
	s_cselect_b32 s0, s0, s12
	s_delay_alu instid0(SALU_CYCLE_1) | instskip(SKIP_1) | instid1(SALU_CYCLE_1)
	v_dual_mov_b32 v17, s1 :: v_dual_mov_b32 v16, s0
	s_and_b64 s[12:13], s[0:1], s[18:19]
	s_mul_u64 s[12:13], s[12:13], 24
	s_wait_loadcnt 0x0
	v_add_nc_u64_e32 v[14:15], s[12:13], v[12:13]
	global_store_b64 v[14:15], v[18:19], off
	global_wb scope:SCOPE_SYS
	s_wait_storecnt 0x0
	s_wait_xcnt 0x0
	global_atomic_cmpswap_b64 v[12:13], v5, v[16:19], s[2:3] offset:24 th:TH_ATOMIC_RETURN scope:SCOPE_SYS
	s_wait_loadcnt 0x0
	v_cmp_ne_u64_e32 vcc_lo, v[12:13], v[18:19]
	s_and_b32 exec_lo, exec_lo, vcc_lo
	s_cbranch_execz .LBB3_539
; %bb.613:                              ;   in Loop: Header=BB3_540 Depth=1
	s_mov_b32 s12, 0
.LBB3_614:                              ;   Parent Loop BB3_540 Depth=1
                                        ; =>  This Inner Loop Header: Depth=2
	v_dual_mov_b32 v10, s0 :: v_dual_mov_b32 v11, s1
	s_sleep 1
	global_store_b64 v[14:15], v[12:13], off
	global_wb scope:SCOPE_SYS
	s_wait_storecnt 0x0
	s_wait_xcnt 0x0
	global_atomic_cmpswap_b64 v[10:11], v5, v[10:13], s[2:3] offset:24 th:TH_ATOMIC_RETURN scope:SCOPE_SYS
	s_wait_loadcnt 0x0
	v_cmp_eq_u64_e32 vcc_lo, v[10:11], v[12:13]
	v_mov_b64_e32 v[12:13], v[10:11]
	s_or_b32 s12, vcc_lo, s12
	s_delay_alu instid0(SALU_CYCLE_1)
	s_and_not1_b32 exec_lo, exec_lo, s12
	s_cbranch_execnz .LBB3_614
	s_branch .LBB3_539
.LBB3_615:
	s_mov_b32 s0, 0
	s_branch .LBB3_617
.LBB3_616:
	s_mov_b32 s0, -1
.LBB3_617:
	s_delay_alu instid0(SALU_CYCLE_1)
	s_and_b32 vcc_lo, exec_lo, s0
	s_cbranch_vccz .LBB3_645
; %bb.618:
	v_readfirstlane_b32 s0, v32
	s_wait_loadcnt 0x0
	v_mov_b64_e32 v[10:11], 0
	s_delay_alu instid0(VALU_DEP_2)
	v_cmp_eq_u32_e64 s0, s0, v32
	s_and_saveexec_b32 s1, s0
	s_cbranch_execz .LBB3_624
; %bb.619:
	v_mov_b32_e32 v1, 0
	s_mov_b32 s4, exec_lo
	global_load_b64 v[6:7], v1, s[2:3] offset:24 scope:SCOPE_SYS
	s_wait_loadcnt 0x0
	global_inv scope:SCOPE_SYS
	s_clause 0x1
	global_load_b64 v[4:5], v1, s[2:3] offset:40
	global_load_b64 v[8:9], v1, s[2:3]
	s_wait_loadcnt 0x1
	v_and_b32_e32 v4, v4, v6
	v_and_b32_e32 v5, v5, v7
	s_delay_alu instid0(VALU_DEP_1) | instskip(SKIP_1) | instid1(VALU_DEP_1)
	v_mul_u64_e32 v[4:5], 24, v[4:5]
	s_wait_loadcnt 0x0
	v_add_nc_u64_e32 v[4:5], v[8:9], v[4:5]
	global_load_b64 v[4:5], v[4:5], off scope:SCOPE_SYS
	s_wait_xcnt 0x0
	s_wait_loadcnt 0x0
	global_atomic_cmpswap_b64 v[10:11], v1, v[4:7], s[2:3] offset:24 th:TH_ATOMIC_RETURN scope:SCOPE_SYS
	s_wait_loadcnt 0x0
	global_inv scope:SCOPE_SYS
	s_wait_xcnt 0x0
	v_cmpx_ne_u64_e64 v[10:11], v[6:7]
	s_cbranch_execz .LBB3_623
; %bb.620:
	s_mov_b32 s5, 0
.LBB3_621:                              ; =>This Inner Loop Header: Depth=1
	s_sleep 1
	s_clause 0x1
	global_load_b64 v[4:5], v1, s[2:3] offset:40
	global_load_b64 v[8:9], v1, s[2:3]
	v_mov_b64_e32 v[6:7], v[10:11]
	s_wait_loadcnt 0x1
	s_delay_alu instid0(VALU_DEP_1) | instskip(SKIP_1) | instid1(VALU_DEP_1)
	v_and_b32_e32 v4, v4, v6
	s_wait_loadcnt 0x0
	v_mad_nc_u64_u32 v[8:9], v4, 24, v[8:9]
	s_delay_alu instid0(VALU_DEP_3) | instskip(NEXT) | instid1(VALU_DEP_1)
	v_and_b32_e32 v4, v5, v7
	v_mad_u32 v9, v4, 24, v9
	global_load_b64 v[4:5], v[8:9], off scope:SCOPE_SYS
	s_wait_xcnt 0x0
	s_wait_loadcnt 0x0
	global_atomic_cmpswap_b64 v[10:11], v1, v[4:7], s[2:3] offset:24 th:TH_ATOMIC_RETURN scope:SCOPE_SYS
	s_wait_loadcnt 0x0
	global_inv scope:SCOPE_SYS
	v_cmp_eq_u64_e32 vcc_lo, v[10:11], v[6:7]
	s_or_b32 s5, vcc_lo, s5
	s_wait_xcnt 0x0
	s_and_not1_b32 exec_lo, exec_lo, s5
	s_cbranch_execnz .LBB3_621
; %bb.622:
	s_or_b32 exec_lo, exec_lo, s5
.LBB3_623:
	s_delay_alu instid0(SALU_CYCLE_1)
	s_or_b32 exec_lo, exec_lo, s4
.LBB3_624:
	s_delay_alu instid0(SALU_CYCLE_1)
	s_or_b32 exec_lo, exec_lo, s1
	v_readfirstlane_b32 s4, v10
	v_mov_b32_e32 v4, 0
	v_readfirstlane_b32 s5, v11
	s_mov_b32 s1, exec_lo
	s_clause 0x1
	global_load_b64 v[12:13], v4, s[2:3] offset:40
	global_load_b128 v[6:9], v4, s[2:3]
	s_wait_loadcnt 0x1
	v_and_b32_e32 v12, s4, v12
	v_and_b32_e32 v13, s5, v13
	s_delay_alu instid0(VALU_DEP_1) | instskip(SKIP_1) | instid1(VALU_DEP_1)
	v_mul_u64_e32 v[10:11], 24, v[12:13]
	s_wait_loadcnt 0x0
	v_add_nc_u64_e32 v[10:11], v[6:7], v[10:11]
	s_wait_xcnt 0x0
	s_and_saveexec_b32 s6, s0
	s_cbranch_execz .LBB3_626
; %bb.625:
	v_mov_b64_e32 v[16:17], 0x100000002
	v_dual_mov_b32 v14, s1 :: v_dual_mov_b32 v15, v4
	global_store_b128 v[10:11], v[14:17], off offset:8
.LBB3_626:
	s_wait_xcnt 0x0
	s_or_b32 exec_lo, exec_lo, s6
	v_lshlrev_b64_e32 v[12:13], 12, v[12:13]
	s_mov_b32 s12, 0
	v_and_or_b32 v2, 0xffffff1d, v2, 34
	s_mov_b32 s13, s12
	s_mov_b32 s14, s12
	;; [unrolled: 1-line block ×3, first 2 shown]
	v_mov_b32_e32 v5, v4
	v_add_nc_u64_e32 v[8:9], v[8:9], v[12:13]
	v_mov_b64_e32 v[12:13], s[12:13]
	v_mov_b64_e32 v[14:15], s[14:15]
	s_delay_alu instid0(VALU_DEP_3) | instskip(NEXT) | instid1(VALU_DEP_4)
	v_readfirstlane_b32 s6, v8
	v_readfirstlane_b32 s7, v9
	s_clause 0x3
	global_store_b128 v0, v[2:5], s[6:7]
	global_store_b128 v0, v[12:15], s[6:7] offset:16
	global_store_b128 v0, v[12:15], s[6:7] offset:32
	;; [unrolled: 1-line block ×3, first 2 shown]
	s_wait_xcnt 0x0
	s_and_saveexec_b32 s1, s0
	s_cbranch_execz .LBB3_634
; %bb.627:
	v_dual_mov_b32 v8, 0 :: v_dual_mov_b32 v13, s5
	s_mov_b32 s6, exec_lo
	s_clause 0x1
	global_load_b64 v[14:15], v8, s[2:3] offset:32 scope:SCOPE_SYS
	global_load_b64 v[0:1], v8, s[2:3] offset:40
	s_wait_loadcnt 0x0
	v_dual_mov_b32 v12, s4 :: v_dual_bitop2_b32 v1, s5, v1 bitop3:0x40
	v_and_b32_e32 v0, s4, v0
	s_delay_alu instid0(VALU_DEP_1) | instskip(NEXT) | instid1(VALU_DEP_1)
	v_mul_u64_e32 v[0:1], 24, v[0:1]
	v_add_nc_u64_e32 v[4:5], v[6:7], v[0:1]
	global_store_b64 v[4:5], v[14:15], off
	global_wb scope:SCOPE_SYS
	s_wait_storecnt 0x0
	s_wait_xcnt 0x0
	global_atomic_cmpswap_b64 v[2:3], v8, v[12:15], s[2:3] offset:32 th:TH_ATOMIC_RETURN scope:SCOPE_SYS
	s_wait_loadcnt 0x0
	v_cmpx_ne_u64_e64 v[2:3], v[14:15]
	s_cbranch_execz .LBB3_630
; %bb.628:
	s_mov_b32 s7, 0
.LBB3_629:                              ; =>This Inner Loop Header: Depth=1
	v_dual_mov_b32 v0, s4 :: v_dual_mov_b32 v1, s5
	s_sleep 1
	global_store_b64 v[4:5], v[2:3], off
	global_wb scope:SCOPE_SYS
	s_wait_storecnt 0x0
	s_wait_xcnt 0x0
	global_atomic_cmpswap_b64 v[0:1], v8, v[0:3], s[2:3] offset:32 th:TH_ATOMIC_RETURN scope:SCOPE_SYS
	s_wait_loadcnt 0x0
	v_cmp_eq_u64_e32 vcc_lo, v[0:1], v[2:3]
	v_mov_b64_e32 v[2:3], v[0:1]
	s_or_b32 s7, vcc_lo, s7
	s_delay_alu instid0(SALU_CYCLE_1)
	s_and_not1_b32 exec_lo, exec_lo, s7
	s_cbranch_execnz .LBB3_629
.LBB3_630:
	s_or_b32 exec_lo, exec_lo, s6
	v_mov_b32_e32 v3, 0
	s_mov_b32 s7, exec_lo
	s_mov_b32 s6, exec_lo
	v_mbcnt_lo_u32_b32 v2, s7, 0
	global_load_b64 v[0:1], v3, s[2:3] offset:16
	s_wait_xcnt 0x0
	v_cmpx_eq_u32_e32 0, v2
	s_cbranch_execz .LBB3_632
; %bb.631:
	s_bcnt1_i32_b32 s7, s7
	s_delay_alu instid0(SALU_CYCLE_1)
	v_mov_b32_e32 v2, s7
	global_wb scope:SCOPE_SYS
	s_wait_loadcnt 0x0
	s_wait_storecnt 0x0
	global_atomic_add_u64 v[0:1], v[2:3], off offset:8 scope:SCOPE_SYS
.LBB3_632:
	s_wait_xcnt 0x0
	s_or_b32 exec_lo, exec_lo, s6
	s_wait_loadcnt 0x0
	global_load_b64 v[2:3], v[0:1], off offset:16
	s_wait_loadcnt 0x0
	v_cmp_eq_u64_e32 vcc_lo, 0, v[2:3]
	s_cbranch_vccnz .LBB3_634
; %bb.633:
	global_load_b32 v0, v[0:1], off offset:24
	s_wait_xcnt 0x0
	v_mov_b32_e32 v1, 0
	s_wait_loadcnt 0x0
	v_readfirstlane_b32 s6, v0
	global_wb scope:SCOPE_SYS
	s_wait_storecnt 0x0
	global_store_b64 v[2:3], v[0:1], off scope:SCOPE_SYS
	s_and_b32 m0, s6, 0xffffff
	s_sendmsg sendmsg(MSG_INTERRUPT)
.LBB3_634:
	s_wait_xcnt 0x0
	s_or_b32 exec_lo, exec_lo, s1
	s_branch .LBB3_638
.LBB3_635:                              ;   in Loop: Header=BB3_638 Depth=1
	s_wait_xcnt 0x0
	s_or_b32 exec_lo, exec_lo, s1
	s_delay_alu instid0(VALU_DEP_1)
	v_readfirstlane_b32 s1, v0
	s_cmp_eq_u32 s1, 0
	s_cbranch_scc1 .LBB3_637
; %bb.636:                              ;   in Loop: Header=BB3_638 Depth=1
	s_sleep 1
	s_cbranch_execnz .LBB3_638
	s_branch .LBB3_640
.LBB3_637:
	s_branch .LBB3_640
.LBB3_638:                              ; =>This Inner Loop Header: Depth=1
	v_mov_b32_e32 v0, 1
	s_and_saveexec_b32 s1, s0
	s_cbranch_execz .LBB3_635
; %bb.639:                              ;   in Loop: Header=BB3_638 Depth=1
	global_load_b32 v0, v[10:11], off offset:20 scope:SCOPE_SYS
	s_wait_loadcnt 0x0
	global_inv scope:SCOPE_SYS
	v_and_b32_e32 v0, 1, v0
	s_branch .LBB3_635
.LBB3_640:
	s_and_saveexec_b32 s6, s0
	s_cbranch_execz .LBB3_644
; %bb.641:
	v_mov_b32_e32 v6, 0
	s_clause 0x2
	global_load_b64 v[0:1], v6, s[2:3] offset:40
	global_load_b64 v[10:11], v6, s[2:3] offset:24 scope:SCOPE_SYS
	global_load_b64 v[2:3], v6, s[2:3]
	s_wait_loadcnt 0x2
	v_readfirstlane_b32 s10, v0
	v_readfirstlane_b32 s11, v1
	s_add_nc_u64 s[0:1], s[10:11], 1
	s_delay_alu instid0(SALU_CYCLE_1) | instskip(NEXT) | instid1(SALU_CYCLE_1)
	s_add_nc_u64 s[4:5], s[0:1], s[4:5]
	s_cmp_eq_u64 s[4:5], 0
	s_cselect_b32 s1, s1, s5
	s_cselect_b32 s0, s0, s4
	v_mov_b32_e32 v9, s1
	s_and_b64 s[4:5], s[0:1], s[10:11]
	v_mov_b32_e32 v8, s0
	s_mul_u64 s[4:5], s[4:5], 24
	s_wait_loadcnt 0x0
	v_add_nc_u64_e32 v[4:5], s[4:5], v[2:3]
	global_store_b64 v[4:5], v[10:11], off
	global_wb scope:SCOPE_SYS
	s_wait_storecnt 0x0
	s_wait_xcnt 0x0
	global_atomic_cmpswap_b64 v[2:3], v6, v[8:11], s[2:3] offset:24 th:TH_ATOMIC_RETURN scope:SCOPE_SYS
	s_wait_loadcnt 0x0
	v_cmp_ne_u64_e32 vcc_lo, v[2:3], v[10:11]
	s_and_b32 exec_lo, exec_lo, vcc_lo
	s_cbranch_execz .LBB3_644
; %bb.642:
	s_mov_b32 s4, 0
.LBB3_643:                              ; =>This Inner Loop Header: Depth=1
	v_dual_mov_b32 v0, s0 :: v_dual_mov_b32 v1, s1
	s_sleep 1
	global_store_b64 v[4:5], v[2:3], off
	global_wb scope:SCOPE_SYS
	s_wait_storecnt 0x0
	s_wait_xcnt 0x0
	global_atomic_cmpswap_b64 v[0:1], v6, v[0:3], s[2:3] offset:24 th:TH_ATOMIC_RETURN scope:SCOPE_SYS
	s_wait_loadcnt 0x0
	v_cmp_eq_u64_e32 vcc_lo, v[0:1], v[2:3]
	v_mov_b64_e32 v[2:3], v[0:1]
	s_or_b32 s4, vcc_lo, s4
	s_delay_alu instid0(SALU_CYCLE_1)
	s_and_not1_b32 exec_lo, exec_lo, s4
	s_cbranch_execnz .LBB3_643
.LBB3_644:
	s_or_b32 exec_lo, exec_lo, s6
.LBB3_645:
	s_get_pc_i64 s[0:1]
	s_add_nc_u64 s[0:1], s[0:1], .str.29@rel64+4
	s_get_pc_i64 s[2:3]
	s_add_nc_u64 s[2:3], s[2:3], .str.19@rel64+4
	s_get_pc_i64 s[4:5]
	s_add_nc_u64 s[4:5], s[4:5], __PRETTY_FUNCTION__._ZN7VecsMemIjLi8192EE5fetchEi@rel64+4
	v_dual_mov_b32 v0, s0 :: v_dual_mov_b32 v1, s1
	s_wait_loadcnt 0x0
	v_dual_mov_b32 v2, s2 :: v_dual_mov_b32 v3, s3
	v_dual_mov_b32 v4, 12 :: v_dual_mov_b32 v5, s4
	v_mov_b32_e32 v6, s5
	s_get_pc_i64 s[6:7]
	s_add_nc_u64 s[6:7], s[6:7], __assert_fail@rel64+4
	s_mov_b64 s[18:19], s[8:9]
	s_swap_pc_i64 s[30:31], s[6:7]
	s_mov_b64 s[8:9], s[18:19]
	s_or_b32 s0, s20, exec_lo
.LBB3_646:
	s_or_b32 exec_lo, exec_lo, s23
	s_delay_alu instid0(SALU_CYCLE_1)
	s_and_not1_b32 s1, s20, exec_lo
	s_and_b32 s0, s0, exec_lo
	s_and_not1_b32 s2, s17, exec_lo
	s_and_b32 s3, s22, exec_lo
	s_or_b32 s20, s1, s0
	s_or_b32 s17, s2, s3
.LBB3_647:
	s_or_b32 exec_lo, exec_lo, s21
	s_delay_alu instid0(SALU_CYCLE_1) | instskip(SKIP_1) | instid1(SALU_CYCLE_1)
	s_and_not1_b32 s0, s51, exec_lo
	s_and_b32 s1, s20, exec_lo
                                        ; implicit-def: $vgpr72_vgpr73
                                        ; implicit-def: $vgpr74
	s_or_b32 s0, s0, s1
	s_and_b32 s1, s17, exec_lo
.LBB3_648:
	s_and_not1_saveexec_b32 s2, s66
	s_cbranch_execz .LBB3_658
; %bb.649:
	v_mov_b32_e32 v0, 0
	s_mov_b32 s3, exec_lo
	s_delay_alu instid0(VALU_DEP_1)
	v_dual_mov_b32 v1, v0 :: v_dual_mov_b32 v2, v0
	v_mov_b32_e32 v3, v0
	flat_store_b128 v[72:73], v[0:3]
	s_wait_xcnt 0x0
	v_cmpx_lt_i32_e32 0, v74
	s_cbranch_execz .LBB3_657
; %bb.650:
	s_mov_b32 s4, exec_lo
	v_cmpx_ne_u32_e32 1, v74
	s_xor_b32 s4, exec_lo, s4
	s_cbranch_execz .LBB3_654
; %bb.651:
	v_mov_b64_e32 v[0:1], 0
	v_and_b32_e32 v4, 0x7ffffffe, v74
	v_dual_mov_b32 v3, 0 :: v_dual_add_nc_u32 v2, -1, v74
	s_mov_b32 s5, 0
.LBB3_652:                              ; =>This Inner Loop Header: Depth=1
	s_delay_alu instid0(VALU_DEP_2) | instskip(NEXT) | instid1(VALU_DEP_2)
	v_add_nc_u32_e32 v4, -2, v4
	v_lshl_add_u64 v[6:7], v[2:3], 2, v[42:43]
	v_add_nc_u32_e32 v2, -2, v2
	s_delay_alu instid0(VALU_DEP_3)
	v_cmp_eq_u32_e32 vcc_lo, 0, v4
	flat_store_b64 v[6:7], v[0:1] offset:-4
	s_or_b32 s5, vcc_lo, s5
	s_wait_xcnt 0x0
	s_and_not1_b32 exec_lo, exec_lo, s5
	s_cbranch_execnz .LBB3_652
; %bb.653:
	s_or_b32 exec_lo, exec_lo, s5
.LBB3_654:
	s_and_not1_saveexec_b32 s4, s4
	s_cbranch_execz .LBB3_657
; %bb.655:
	v_mov_b64_e32 v[0:1], v[42:43]
	v_mov_b32_e32 v2, 0
	s_mov_b32 s4, 2
.LBB3_656:                              ; =>This Inner Loop Header: Depth=1
	flat_store_b32 v[0:1], v2
	s_wait_xcnt 0x0
	v_add_nc_u64_e32 v[0:1], 0x3fffffffc, v[0:1]
	s_add_co_i32 s4, s4, -1
	s_delay_alu instid0(SALU_CYCLE_1)
	s_cmp_lt_u32 s4, 2
	s_cbranch_scc0 .LBB3_656
.LBB3_657:
	s_or_b32 exec_lo, exec_lo, s3
	s_delay_alu instid0(SALU_CYCLE_1)
	s_or_b32 s1, s1, exec_lo
.LBB3_658:
	s_or_b32 exec_lo, exec_lo, s2
	s_and_saveexec_b32 s2, s1
	s_delay_alu instid0(SALU_CYCLE_1) | instskip(NEXT) | instid1(SALU_CYCLE_1)
	s_xor_b32 s1, exec_lo, s2
	s_or_b32 exec_lo, exec_lo, s1
	s_delay_alu instid0(SALU_CYCLE_1) | instskip(SKIP_1) | instid1(SALU_CYCLE_1)
	s_and_not1_b32 s1, s51, exec_lo
	s_and_b32 s0, s0, exec_lo
	s_or_b32 s17, s1, s0
.LBB3_659:
	s_and_not1_saveexec_b32 s18, s65
	s_cbranch_execz .LBB3_661
; %bb.660:
	s_get_pc_i64 s[0:1]
	s_add_nc_u64 s[0:1], s[0:1], .str.17@rel64+4
	s_get_pc_i64 s[2:3]
	s_add_nc_u64 s[2:3], s[2:3], .str.16@rel64+4
	s_get_pc_i64 s[4:5]
	s_add_nc_u64 s[4:5], s[4:5], __PRETTY_FUNCTION__._ZN3sop13minatoIsopRecEPKjS1_iPNS_3SopEP7VecsMemIjLi8192EE@rel64+4
	v_dual_mov_b32 v0, s0 :: v_dual_mov_b32 v1, s1
	v_dual_mov_b32 v2, s2 :: v_dual_mov_b32 v3, s3
	;; [unrolled: 1-line block ×3, first 2 shown]
	v_mov_b32_e32 v6, s5
	s_get_pc_i64 s[6:7]
	s_add_nc_u64 s[6:7], s[6:7], __assert_fail@rel64+4
	s_delay_alu instid0(SALU_CYCLE_1)
	s_swap_pc_i64 s[30:31], s[6:7]
	s_or_b32 s17, s17, exec_lo
.LBB3_661:
	s_or_b32 exec_lo, exec_lo, s18
	s_delay_alu instid0(SALU_CYCLE_1) | instskip(SKIP_1) | instid1(SALU_CYCLE_1)
	s_and_not1_b32 s0, s51, exec_lo
	s_and_b32 s1, s17, exec_lo
	s_or_b32 s51, s0, s1
	s_or_b32 exec_lo, exec_lo, s64
	s_and_saveexec_b32 s0, s51
	s_cbranch_execnz .LBB3_3
	s_branch .LBB3_4
.Lfunc_end3:
	.size	_ZN3sop13minatoIsopRecEPKjS1_iPNS_3SopEP7VecsMemIjLi8192EE, .Lfunc_end3-_ZN3sop13minatoIsopRecEPKjS1_iPNS_3SopEP7VecsMemIjLi8192EE
                                        ; -- End function
	.set .L_ZN3sop13minatoIsopRecEPKjS1_iPNS_3SopEP7VecsMemIjLi8192EE.num_vgpr, max(91, .L__assert_fail.num_vgpr, .L_ZN3sop14minatoIsop5RecEjjiPNS_3SopEP7VecsMemIjLi8192EE.num_vgpr)
	.set .L_ZN3sop13minatoIsopRecEPKjS1_iPNS_3SopEP7VecsMemIjLi8192EE.num_agpr, max(0, .L__assert_fail.num_agpr, .L_ZN3sop14minatoIsop5RecEjjiPNS_3SopEP7VecsMemIjLi8192EE.num_agpr)
	.set .L_ZN3sop13minatoIsopRecEPKjS1_iPNS_3SopEP7VecsMemIjLi8192EE.numbered_sgpr, max(82, .L__assert_fail.numbered_sgpr, .L_ZN3sop14minatoIsop5RecEjjiPNS_3SopEP7VecsMemIjLi8192EE.numbered_sgpr)
	.set .L_ZN3sop13minatoIsopRecEPKjS1_iPNS_3SopEP7VecsMemIjLi8192EE.num_named_barrier, max(0, .L__assert_fail.num_named_barrier, .L_ZN3sop14minatoIsop5RecEjjiPNS_3SopEP7VecsMemIjLi8192EE.num_named_barrier)
	.set .L_ZN3sop13minatoIsopRecEPKjS1_iPNS_3SopEP7VecsMemIjLi8192EE.private_seg_size, 160+max(.L__assert_fail.private_seg_size, .L_ZN3sop14minatoIsop5RecEjjiPNS_3SopEP7VecsMemIjLi8192EE.private_seg_size)
	.set .L_ZN3sop13minatoIsopRecEPKjS1_iPNS_3SopEP7VecsMemIjLi8192EE.uses_vcc, or(1, .L__assert_fail.uses_vcc, .L_ZN3sop14minatoIsop5RecEjjiPNS_3SopEP7VecsMemIjLi8192EE.uses_vcc)
	.set .L_ZN3sop13minatoIsopRecEPKjS1_iPNS_3SopEP7VecsMemIjLi8192EE.uses_flat_scratch, or(1, .L__assert_fail.uses_flat_scratch, .L_ZN3sop14minatoIsop5RecEjjiPNS_3SopEP7VecsMemIjLi8192EE.uses_flat_scratch)
	.set .L_ZN3sop13minatoIsopRecEPKjS1_iPNS_3SopEP7VecsMemIjLi8192EE.has_dyn_sized_stack, or(0, .L__assert_fail.has_dyn_sized_stack, .L_ZN3sop14minatoIsop5RecEjjiPNS_3SopEP7VecsMemIjLi8192EE.has_dyn_sized_stack)
	.set .L_ZN3sop13minatoIsopRecEPKjS1_iPNS_3SopEP7VecsMemIjLi8192EE.has_recursion, or(1, .L__assert_fail.has_recursion, .L_ZN3sop14minatoIsop5RecEjjiPNS_3SopEP7VecsMemIjLi8192EE.has_recursion)
	.set .L_ZN3sop13minatoIsopRecEPKjS1_iPNS_3SopEP7VecsMemIjLi8192EE.has_indirect_call, or(0, .L__assert_fail.has_indirect_call, .L_ZN3sop14minatoIsop5RecEjjiPNS_3SopEP7VecsMemIjLi8192EE.has_indirect_call)
	.section	.AMDGPU.csdata,"",@progbits
; Function info:
; codeLenInByte = 25920
; TotalNumSgprs: 84
; NumVgprs: 91
; ScratchSize: 352
; MemoryBound: 0
	.text
	.p2align	2                               ; -- Begin function _ZN3sop23sopFactorTrivialCubeRecEjiiPN8subgUtil4SubgILi256EEE
	.type	_ZN3sop23sopFactorTrivialCubeRecEjiiPN8subgUtil4SubgILi256EEE,@function
_ZN3sop23sopFactorTrivialCubeRecEjiiPN8subgUtil4SubgILi256EEE: ; @_ZN3sop23sopFactorTrivialCubeRecEjiiPN8subgUtil4SubgILi256EEE
; %bb.0:
	s_wait_loadcnt_dscnt 0x0
	s_wait_kmcnt 0x0
	s_mov_b32 s0, s33
	s_mov_b32 s33, s32
	s_or_saveexec_b32 s1, -1
	scratch_store_b32 off, v46, s33 offset:24 ; 4-byte Folded Spill
	s_wait_xcnt 0x0
	s_mov_b32 exec_lo, s1
	v_writelane_b32 v46, s0, 11
	s_add_co_i32 s32, s32, 32
	s_clause 0x5
	scratch_store_b32 off, v40, s33 offset:20
	; meta instruction
	scratch_store_b32 off, v41, s33 offset:16
	; meta instruction
	;; [unrolled: 2-line block ×5, first 2 shown]
	scratch_store_b32 off, v45, s33
	v_writelane_b32 v46, s34, 0
	v_writelane_b32 v46, s35, 1
	v_writelane_b32 v46, s36, 2
	v_writelane_b32 v46, s37, 3
	v_writelane_b32 v46, s38, 4
	v_writelane_b32 v46, s39, 5
	v_writelane_b32 v46, s48, 6
	v_writelane_b32 v46, s50, 7
	v_writelane_b32 v46, s51, 8
	v_writelane_b32 v46, s30, 9
	v_writelane_b32 v46, s31, 10
	s_wait_xcnt 0x0
	v_dual_mov_b32 v45, v4 :: v_dual_mov_b32 v44, v3
	s_mov_b32 s17, 0
                                        ; implicit-def: $vgpr55
	s_mov_b32 s0, exec_lo
	v_cmpx_ne_u32_e32 0, v0
	s_xor_b32 s38, exec_lo, s0
	s_cbranch_execnz .LBB4_5
; %bb.1:
	s_and_not1_saveexec_b32 s18, s38
	s_cbranch_execnz .LBB4_34
.LBB4_2:
	s_or_b32 exec_lo, exec_lo, s18
	s_and_saveexec_b32 s0, s17
.LBB4_3:
	; divergent unreachable
.LBB4_4:
	s_delay_alu instid0(SALU_CYCLE_1)
	s_or_b32 exec_lo, exec_lo, s0
	s_clause 0x5
	scratch_load_b32 v45, off, s33
	scratch_load_b32 v44, off, s33 offset:4
	scratch_load_b32 v43, off, s33 offset:8
	;; [unrolled: 1-line block ×5, first 2 shown]
	v_readlane_b32 s30, v46, 9
	v_mov_b32_e32 v0, v55
	v_readlane_b32 s31, v46, 10
	v_readlane_b32 s51, v46, 8
	;; [unrolled: 1-line block ×10, first 2 shown]
	s_mov_b32 s32, s33
	v_readlane_b32 s0, v46, 11
	s_wait_xcnt 0x0
	s_or_saveexec_b32 s1, -1
	scratch_load_b32 v46, off, s33 offset:24 ; 4-byte Folded Reload
	s_wait_xcnt 0x0
	s_mov_b32 exec_lo, s1
	s_mov_b32 s33, s0
	s_wait_loadcnt_dscnt 0x0
	s_set_pc_i64 s[30:31]
.LBB4_5:
	v_cmp_lt_i32_e32 vcc_lo, v1, v2
	v_dual_mov_b32 v55, -1 :: v_dual_mov_b32 v3, 0
	s_and_saveexec_b32 s1, vcc_lo
	s_cbranch_execz .LBB4_9
; %bb.6:
	v_dual_mov_b32 v55, -1 :: v_dual_mov_b32 v3, 0
	v_mov_b32_e32 v4, v1
	s_mov_b32 s2, 0
.LBB4_7:                                ; =>This Inner Loop Header: Depth=1
	s_delay_alu instid0(VALU_DEP_1) | instskip(NEXT) | instid1(VALU_DEP_1)
	v_bfe_u32 v6, v0, v4, 1
	v_dual_lshrrev_b32 v5, v4, v0 :: v_dual_add_nc_u32 v3, v3, v6
	s_delay_alu instid0(VALU_DEP_1) | instskip(NEXT) | instid1(VALU_DEP_1)
	v_and_b32_e32 v5, 1, v5
	v_cmp_eq_u32_e64 s0, 1, v5
	s_delay_alu instid0(VALU_DEP_1) | instskip(NEXT) | instid1(VALU_DEP_1)
	v_dual_cndmask_b32 v55, v55, v4, s0 :: v_dual_add_nc_u32 v4, 1, v4
	v_cmp_ge_i32_e64 s0, v4, v2
	s_or_b32 s2, s0, s2
	s_delay_alu instid0(SALU_CYCLE_1)
	s_and_not1_b32 exec_lo, exec_lo, s2
	s_cbranch_execnz .LBB4_7
; %bb.8:
	s_or_b32 exec_lo, exec_lo, s2
.LBB4_9:
	s_delay_alu instid0(SALU_CYCLE_1)
	s_or_b32 exec_lo, exec_lo, s1
	s_mov_b32 s17, 0
	s_mov_b32 s1, exec_lo
	v_cmpx_ne_u32_e32 -1, v55
	s_xor_b32 s39, exec_lo, s1
	s_cbranch_execz .LBB4_31
; %bb.10:
	s_mov_b32 s1, 0
	s_mov_b32 s48, exec_lo
	v_cmpx_ne_u32_e32 1, v3
	s_cbranch_execz .LBB4_30
; %bb.11:
	v_mov_b32_e32 v41, v1
	s_and_saveexec_b32 s0, vcc_lo
	s_cbranch_execz .LBB4_21
; %bb.12:
	v_dual_mov_b32 v4, 0 :: v_dual_lshrrev_b32 v3, 1, v3
	v_mov_b32_e32 v5, v1
	s_branch .LBB4_14
.LBB4_13:                               ;   in Loop: Header=BB4_14 Depth=1
	s_or_b32 exec_lo, exec_lo, s3
	v_dual_mov_b32 v41, v5 :: v_dual_mov_b32 v5, v6
	s_and_b32 s2, exec_lo, s2
	s_delay_alu instid0(SALU_CYCLE_1) | instskip(NEXT) | instid1(SALU_CYCLE_1)
	s_or_b32 s1, s2, s1
	s_and_not1_b32 exec_lo, exec_lo, s1
	s_cbranch_execz .LBB4_20
.LBB4_14:                               ; =>This Inner Loop Header: Depth=1
	s_delay_alu instid0(VALU_DEP_1) | instskip(SKIP_3) | instid1(VALU_DEP_1)
	v_lshrrev_b32_e32 v6, v5, v0
	s_mov_b32 s2, -1
	s_mov_b32 s4, -1
	s_mov_b32 s3, exec_lo
	v_and_b32_e32 v6, 1, v6
	s_delay_alu instid0(VALU_DEP_1)
	v_cmpx_eq_u32_e32 1, v6
	s_cbranch_execz .LBB4_18
; %bb.15:                               ;   in Loop: Header=BB4_14 Depth=1
	s_mov_b32 s4, 0
	s_mov_b32 s5, exec_lo
	v_cmpx_ne_u32_e64 v4, v3
; %bb.16:                               ;   in Loop: Header=BB4_14 Depth=1
	v_add_nc_u32_e32 v4, 1, v4
	s_mov_b32 s4, exec_lo
; %bb.17:                               ;   in Loop: Header=BB4_14 Depth=1
	s_or_b32 exec_lo, exec_lo, s5
	s_delay_alu instid0(SALU_CYCLE_1)
	s_or_not1_b32 s4, s4, exec_lo
.LBB4_18:                               ;   in Loop: Header=BB4_14 Depth=1
	s_or_b32 exec_lo, exec_lo, s3
                                        ; implicit-def: $vgpr6
	s_and_saveexec_b32 s3, s4
	s_cbranch_execz .LBB4_13
; %bb.19:                               ;   in Loop: Header=BB4_14 Depth=1
	v_dual_mov_b32 v5, v2 :: v_dual_add_nc_u32 v6, 1, v5
	s_delay_alu instid0(VALU_DEP_1)
	v_cmp_ge_i32_e32 vcc_lo, v6, v2
	s_or_not1_b32 s2, vcc_lo, exec_lo
	s_branch .LBB4_13
.LBB4_20:
	s_or_b32 exec_lo, exec_lo, s1
.LBB4_21:
	s_delay_alu instid0(SALU_CYCLE_1)
	s_or_b32 exec_lo, exec_lo, s0
	v_dual_mov_b32 v42, v2 :: v_dual_mov_b32 v43, v0
	v_dual_mov_b32 v2, v41 :: v_dual_mov_b32 v3, v44
	v_mov_b32_e32 v4, v45
	s_get_pc_i64 s[50:51]
	s_add_nc_u64 s[50:51], s[50:51], _ZN3sop23sopFactorTrivialCubeRecEjiiPN8subgUtil4SubgILi256EEE@rel64+4
	s_mov_b64 s[36:37], s[8:9]
	s_swap_pc_i64 s[30:31], s[50:51]
	v_dual_mov_b32 v40, v0 :: v_dual_mov_b32 v0, v43
	v_dual_mov_b32 v1, v41 :: v_dual_mov_b32 v2, v42
	;; [unrolled: 1-line block ×3, first 2 shown]
	s_mov_b64 s[8:9], s[36:37]
	s_mov_b64 s[34:35], s[36:37]
	s_swap_pc_i64 s[30:31], s[50:51]
	flat_load_b32 v2, v[44:45]
	s_mov_b32 s17, 0
	s_mov_b32 s0, exec_lo
	s_wait_loadcnt_dscnt 0x0
	v_cmpx_lt_i32_e32 0xff, v2
	s_xor_b32 s18, exec_lo, s0
	s_cbranch_execz .LBB4_23
; %bb.22:
	s_get_pc_i64 s[0:1]
	s_add_nc_u64 s[0:1], s[0:1], .str.43@rel64+4
	s_get_pc_i64 s[2:3]
	s_add_nc_u64 s[2:3], s[2:3], .str.44@rel64+4
	s_get_pc_i64 s[4:5]
	s_add_nc_u64 s[4:5], s[4:5], __PRETTY_FUNCTION__._ZN8subgUtil4SubgILi256EE10addNodeAndEii@rel64+4
	v_dual_mov_b32 v0, s0 :: v_dual_mov_b32 v1, s1
	v_dual_mov_b32 v2, s2 :: v_dual_mov_b32 v3, s3
	;; [unrolled: 1-line block ×3, first 2 shown]
	v_mov_b32_e32 v6, s5
	s_get_pc_i64 s[6:7]
	s_add_nc_u64 s[6:7], s[6:7], __assert_fail@rel64+4
	s_mov_b64 s[8:9], s[34:35]
	s_swap_pc_i64 s[30:31], s[6:7]
	s_mov_b32 s17, exec_lo
                                        ; implicit-def: $vgpr0
                                        ; implicit-def: $vgpr40
                                        ; implicit-def: $vgpr2
                                        ; implicit-def: $vgpr44_vgpr45
.LBB4_23:
	s_or_saveexec_b32 s18, s18
	s_mov_b64 s[8:9], s[34:35]
                                        ; implicit-def: $vgpr55
	s_xor_b32 exec_lo, exec_lo, s18
	s_cbranch_execz .LBB4_29
; %bb.24:
	v_or_b32_e32 v1, v0, v40
	s_mov_b32 s0, exec_lo
                                        ; implicit-def: $vgpr55
	s_delay_alu instid0(VALU_DEP_1)
	v_cmpx_lt_i32_e32 -1, v1
	s_xor_b32 s0, exec_lo, s0
	s_cbranch_execz .LBB4_26
; %bb.25:
	v_dual_ashrrev_i32 v3, 31, v2 :: v_dual_max_i32 v4, v40, v0
	v_dual_add_nc_u32 v6, 1, v2 :: v_dual_min_i32 v1, v40, v0
	s_delay_alu instid0(VALU_DEP_2) | instskip(NEXT) | instid1(VALU_DEP_3)
	v_dual_lshlrev_b32 v55, 1, v2 :: v_dual_lshlrev_b32 v0, 1, v4
	v_lshl_add_u64 v[4:5], v[2:3], 3, v[44:45]
	s_clause 0x1
	flat_store_b32 v[44:45], v6
	flat_store_b64 v[4:5], v[0:1] offset:8
.LBB4_26:
	s_wait_xcnt 0x0
	s_or_saveexec_b32 s19, s0
	s_mov_b32 s0, s17
	s_xor_b32 exec_lo, exec_lo, s19
	s_cbranch_execz .LBB4_28
; %bb.27:
	s_get_pc_i64 s[0:1]
	s_add_nc_u64 s[0:1], s[0:1], .str.46@rel64+4
	s_get_pc_i64 s[2:3]
	s_add_nc_u64 s[2:3], s[2:3], .str.44@rel64+4
	s_get_pc_i64 s[4:5]
	s_add_nc_u64 s[4:5], s[4:5], __PRETTY_FUNCTION__._ZN8subgUtil18formAndNodeKeyFlagEiii@rel64+4
	v_dual_mov_b32 v0, s0 :: v_dual_mov_b32 v1, s1
	v_dual_mov_b32 v2, s2 :: v_dual_mov_b32 v3, s3
	;; [unrolled: 1-line block ×3, first 2 shown]
	v_mov_b32_e32 v6, s5
	s_get_pc_i64 s[6:7]
	s_add_nc_u64 s[6:7], s[6:7], __assert_fail@rel64+4
	s_mov_b64 s[8:9], s[34:35]
	s_swap_pc_i64 s[30:31], s[6:7]
	s_mov_b64 s[8:9], s[34:35]
	s_or_b32 s0, s17, exec_lo
.LBB4_28:
	s_or_b32 exec_lo, exec_lo, s19
	s_delay_alu instid0(SALU_CYCLE_1) | instskip(SKIP_1) | instid1(SALU_CYCLE_1)
	s_and_not1_b32 s1, s17, exec_lo
	s_and_b32 s0, s0, exec_lo
	s_or_b32 s17, s1, s0
.LBB4_29:
	s_or_b32 exec_lo, exec_lo, s18
	s_delay_alu instid0(SALU_CYCLE_1)
	s_and_b32 s1, s17, exec_lo
.LBB4_30:
	s_or_b32 exec_lo, exec_lo, s48
	s_delay_alu instid0(SALU_CYCLE_1)
	s_and_b32 s17, s1, exec_lo
.LBB4_31:
	s_and_not1_saveexec_b32 s20, s39
	s_cbranch_execz .LBB4_33
; %bb.32:
	s_get_pc_i64 s[0:1]
	s_add_nc_u64 s[0:1], s[0:1], .str.37@rel64+4
	s_get_pc_i64 s[2:3]
	s_add_nc_u64 s[2:3], s[2:3], .str.31@rel64+4
	s_get_pc_i64 s[4:5]
	s_add_nc_u64 s[4:5], s[4:5], __PRETTY_FUNCTION__._ZN3sop23sopFactorTrivialCubeRecEjiiPN8subgUtil4SubgILi256EEE@rel64+4
	v_dual_mov_b32 v0, s0 :: v_dual_mov_b32 v1, s1
	v_dual_mov_b32 v2, s2 :: v_dual_mov_b32 v3, s3
	v_dual_mov_b32 v4, 0xb7 :: v_dual_mov_b32 v5, s4
	v_mov_b32_e32 v6, s5
	s_get_pc_i64 s[6:7]
	s_add_nc_u64 s[6:7], s[6:7], __assert_fail@rel64+4
	s_mov_b64 s[18:19], s[8:9]
	s_swap_pc_i64 s[30:31], s[6:7]
	s_mov_b64 s[8:9], s[18:19]
	s_or_b32 s17, s17, exec_lo
.LBB4_33:
	s_or_b32 exec_lo, exec_lo, s20
	s_delay_alu instid0(SALU_CYCLE_1)
	s_and_b32 s17, s17, exec_lo
	s_and_not1_saveexec_b32 s18, s38
	s_cbranch_execz .LBB4_2
.LBB4_34:
	s_get_pc_i64 s[0:1]
	s_add_nc_u64 s[0:1], s[0:1], .str.36@rel64+4
	s_get_pc_i64 s[2:3]
	s_add_nc_u64 s[2:3], s[2:3], .str.31@rel64+4
	s_get_pc_i64 s[4:5]
	s_add_nc_u64 s[4:5], s[4:5], __PRETTY_FUNCTION__._ZN3sop23sopFactorTrivialCubeRecEjiiPN8subgUtil4SubgILi256EEE@rel64+4
	v_dual_mov_b32 v0, s0 :: v_dual_mov_b32 v1, s1
	v_dual_mov_b32 v2, s2 :: v_dual_mov_b32 v3, s3
	;; [unrolled: 1-line block ×3, first 2 shown]
	v_mov_b32_e32 v6, s5
	s_get_pc_i64 s[6:7]
	s_add_nc_u64 s[6:7], s[6:7], __assert_fail@rel64+4
	s_delay_alu instid0(SALU_CYCLE_1)
	s_swap_pc_i64 s[30:31], s[6:7]
	s_or_b32 s17, s17, exec_lo
	s_or_b32 exec_lo, exec_lo, s18
	s_and_saveexec_b32 s0, s17
	s_cbranch_execnz .LBB4_3
	s_branch .LBB4_4
.Lfunc_end4:
	.size	_ZN3sop23sopFactorTrivialCubeRecEjiiPN8subgUtil4SubgILi256EEE, .Lfunc_end4-_ZN3sop23sopFactorTrivialCubeRecEjiiPN8subgUtil4SubgILi256EEE
                                        ; -- End function
	.set .L_ZN3sop23sopFactorTrivialCubeRecEjiiPN8subgUtil4SubgILi256EEE.num_vgpr, max(56, .L__assert_fail.num_vgpr)
	.set .L_ZN3sop23sopFactorTrivialCubeRecEjiiPN8subgUtil4SubgILi256EEE.num_agpr, max(0, .L__assert_fail.num_agpr)
	.set .L_ZN3sop23sopFactorTrivialCubeRecEjiiPN8subgUtil4SubgILi256EEE.numbered_sgpr, max(52, .L__assert_fail.numbered_sgpr)
	.set .L_ZN3sop23sopFactorTrivialCubeRecEjiiPN8subgUtil4SubgILi256EEE.num_named_barrier, max(0, .L__assert_fail.num_named_barrier)
	.set .L_ZN3sop23sopFactorTrivialCubeRecEjiiPN8subgUtil4SubgILi256EEE.private_seg_size, 32+max(.L__assert_fail.private_seg_size)
	.set .L_ZN3sop23sopFactorTrivialCubeRecEjiiPN8subgUtil4SubgILi256EEE.uses_vcc, or(1, .L__assert_fail.uses_vcc)
	.set .L_ZN3sop23sopFactorTrivialCubeRecEjiiPN8subgUtil4SubgILi256EEE.uses_flat_scratch, or(1, .L__assert_fail.uses_flat_scratch)
	.set .L_ZN3sop23sopFactorTrivialCubeRecEjiiPN8subgUtil4SubgILi256EEE.has_dyn_sized_stack, or(0, .L__assert_fail.has_dyn_sized_stack)
	.set .L_ZN3sop23sopFactorTrivialCubeRecEjiiPN8subgUtil4SubgILi256EEE.has_recursion, or(1, .L__assert_fail.has_recursion)
	.set .L_ZN3sop23sopFactorTrivialCubeRecEjiiPN8subgUtil4SubgILi256EEE.has_indirect_call, or(0, .L__assert_fail.has_indirect_call)
	.section	.AMDGPU.csdata,"",@progbits
; Function info:
; codeLenInByte = 1628
; TotalNumSgprs: 54
; NumVgprs: 56
; ScratchSize: 96
; MemoryBound: 0
	.text
	.p2align	2                               ; -- Begin function _ZN3sop19sopFactorTrivialRecEPjiiPN8subgUtil4SubgILi256EEE
	.type	_ZN3sop19sopFactorTrivialRecEPjiiPN8subgUtil4SubgILi256EEE,@function
_ZN3sop19sopFactorTrivialRecEPjiiPN8subgUtil4SubgILi256EEE: ; @_ZN3sop19sopFactorTrivialRecEPjiiPN8subgUtil4SubgILi256EEE
; %bb.0:
	s_wait_loadcnt_dscnt 0x0
	s_wait_kmcnt 0x0
	s_mov_b32 s0, s33
	s_mov_b32 s33, s32
	s_or_saveexec_b32 s1, -1
	scratch_store_b32 off, v57, s33 offset:36 ; 4-byte Folded Spill
	s_wait_xcnt 0x0
	s_mov_b32 exec_lo, s1
	v_writelane_b32 v57, s0, 12
	s_add_co_i32 s32, s32, 48
	s_clause 0x8
	scratch_store_b32 off, v40, s33 offset:32
	; meta instruction
	scratch_store_b32 off, v41, s33 offset:28
	; meta instruction
	;; [unrolled: 2-line block ×8, first 2 shown]
	scratch_store_b32 off, v56, s33
	v_writelane_b32 v57, s34, 0
	v_writelane_b32 v57, s35, 1
	;; [unrolled: 1-line block ×12, first 2 shown]
	s_wait_xcnt 0x7
	v_dual_mov_b32 v41, v5 :: v_dual_mov_b32 v40, v4
	s_wait_xcnt 0x5
	v_dual_mov_b32 v43, v1 :: v_dual_mov_b32 v42, v0
	s_mov_b64 s[34:35], s[8:9]
                                        ; implicit-def: $vgpr55
	s_mov_b32 s0, exec_lo
	s_wait_xcnt 0x0
	v_cmpx_ne_u32_e32 1, v2
	s_xor_b32 s36, exec_lo, s0
	s_cbranch_execz .LBB5_6
; %bb.1:
	v_dual_mov_b32 v1, v43 :: v_dual_lshrrev_b32 v0, 31, v2
	v_dual_mov_b32 v56, v3 :: v_dual_mov_b32 v4, v40
	s_get_pc_i64 s[38:39]
	s_add_nc_u64 s[38:39], s[38:39], _ZN3sop19sopFactorTrivialRecEPjiiPN8subgUtil4SubgILi256EEE@rel64+4
	s_delay_alu instid0(VALU_DEP_2) | instskip(SKIP_1) | instid1(VALU_DEP_1)
	v_add_nc_u32_e32 v0, v2, v0
	s_mov_b64 s[8:9], s[34:35]
	v_dual_mov_b32 v5, v41 :: v_dual_ashrrev_i32 v46, 1, v0
	v_mov_b32_e32 v0, v42
	s_delay_alu instid0(VALU_DEP_2) | instskip(SKIP_2) | instid1(VALU_DEP_3)
	v_sub_nc_u32_e32 v45, v2, v46
	v_mov_b32_e32 v2, v46
	s_swap_pc_i64 s[30:31], s[38:39]
	v_dual_mov_b32 v44, v0 :: v_dual_ashrrev_i32 v47, 31, v46
	s_delay_alu instid0(VALU_DEP_3) | instskip(SKIP_1) | instid1(VALU_DEP_3)
	v_dual_mov_b32 v2, v45 :: v_dual_mov_b32 v3, v56
	v_dual_mov_b32 v4, v40 :: v_dual_mov_b32 v5, v41
	v_lshl_add_u64 v[0:1], v[46:47], 2, v[42:43]
	s_mov_b64 s[8:9], s[34:35]
	s_swap_pc_i64 s[30:31], s[38:39]
	flat_load_b32 v1, v[40:41]
	s_mov_b32 s17, 0
	s_mov_b32 s0, exec_lo
	s_wait_loadcnt_dscnt 0x0
	v_cmpx_lt_i32_e32 0xff, v1
	s_xor_b32 s18, exec_lo, s0
	s_cbranch_execnz .LBB5_9
; %bb.2:
	s_or_saveexec_b32 s18, s18
                                        ; implicit-def: $vgpr55
	s_delay_alu instid0(SALU_CYCLE_1)
	s_xor_b32 exec_lo, exec_lo, s18
	s_cbranch_execnz .LBB5_10
.LBB5_3:
	s_or_b32 exec_lo, exec_lo, s18
	s_and_saveexec_b32 s0, s17
.LBB5_4:
	; divergent unreachable
.LBB5_5:
	s_delay_alu instid0(SALU_CYCLE_1)
	s_or_b32 exec_lo, exec_lo, s0
                                        ; implicit-def: $vgpr42_vgpr43
                                        ; implicit-def: $vgpr40_vgpr41
                                        ; implicit-def: $vgpr3
.LBB5_6:
	s_and_not1_saveexec_b32 s49, s36
	s_cbranch_execz .LBB5_8
; %bb.7:
	flat_load_b32 v0, v[42:43]
	v_dual_mov_b32 v1, 0 :: v_dual_mov_b32 v2, v3
	v_dual_mov_b32 v3, v40 :: v_dual_mov_b32 v4, v41
	s_get_pc_i64 s[0:1]
	s_add_nc_u64 s[0:1], s[0:1], _ZN3sop23sopFactorTrivialCubeRecEjiiPN8subgUtil4SubgILi256EEE@rel64+4
	s_mov_b64 s[8:9], s[34:35]
	s_swap_pc_i64 s[30:31], s[0:1]
	v_mov_b32_e32 v55, v0
.LBB5_8:
	s_wait_xcnt 0x0
	s_or_b32 exec_lo, exec_lo, s49
	s_clause 0x8
	scratch_load_b32 v56, off, s33
	scratch_load_b32 v47, off, s33 offset:4
	scratch_load_b32 v46, off, s33 offset:8
	;; [unrolled: 1-line block ×8, first 2 shown]
	v_readlane_b32 s30, v57, 10
	v_mov_b32_e32 v0, v55
	v_readlane_b32 s31, v57, 11
	v_readlane_b32 s51, v57, 9
	;; [unrolled: 1-line block ×11, first 2 shown]
	s_mov_b32 s32, s33
	v_readlane_b32 s0, v57, 12
	s_wait_xcnt 0x0
	s_or_saveexec_b32 s1, -1
	scratch_load_b32 v57, off, s33 offset:36 ; 4-byte Folded Reload
	s_wait_xcnt 0x0
	s_mov_b32 exec_lo, s1
	s_mov_b32 s33, s0
	s_wait_loadcnt_dscnt 0x0
	s_wait_kmcnt 0x0
	s_set_pc_i64 s[30:31]
.LBB5_9:
	s_get_pc_i64 s[0:1]
	s_add_nc_u64 s[0:1], s[0:1], .str.43@rel64+4
	s_get_pc_i64 s[2:3]
	s_add_nc_u64 s[2:3], s[2:3], .str.44@rel64+4
	s_get_pc_i64 s[4:5]
	s_add_nc_u64 s[4:5], s[4:5], __PRETTY_FUNCTION__._ZN8subgUtil4SubgILi256EE9addNodeOrEii@rel64+4
	v_dual_mov_b32 v0, s0 :: v_dual_mov_b32 v1, s1
	v_dual_mov_b32 v2, s2 :: v_dual_mov_b32 v3, s3
	;; [unrolled: 1-line block ×3, first 2 shown]
	v_mov_b32_e32 v6, s5
	s_get_pc_i64 s[6:7]
	s_add_nc_u64 s[6:7], s[6:7], __assert_fail@rel64+4
	s_mov_b64 s[8:9], s[34:35]
	s_swap_pc_i64 s[30:31], s[6:7]
	s_mov_b32 s17, exec_lo
                                        ; implicit-def: $vgpr0
                                        ; implicit-def: $vgpr44
                                        ; implicit-def: $vgpr40_vgpr41
	s_or_saveexec_b32 s18, s18
                                        ; implicit-def: $vgpr55
	s_delay_alu instid0(SALU_CYCLE_1)
	s_xor_b32 exec_lo, exec_lo, s18
	s_cbranch_execz .LBB5_3
.LBB5_10:
	v_min_i32_e32 v39, v44, v0
	v_max_i32_e32 v4, v44, v0
	s_delay_alu instid0(VALU_DEP_2) | instskip(NEXT) | instid1(VALU_DEP_2)
	v_xor_b32_e32 v1, 1, v39
	v_xor_b32_e32 v38, 1, v4
	s_delay_alu instid0(VALU_DEP_1)
	v_cmp_gt_i32_e64 s0, v1, v38
	s_and_saveexec_b32 s16, s0
	s_cbranch_execz .LBB5_192
; %bb.11:
	s_load_b64 s[2:3], s[34:35], 0x50
	v_mbcnt_lo_u32_b32 v5, -1, 0
	v_mov_b64_e32 v[2:3], 0
	s_delay_alu instid0(VALU_DEP_2) | instskip(NEXT) | instid1(VALU_DEP_1)
	v_readfirstlane_b32 s1, v5
	v_cmp_eq_u32_e64 s1, s1, v5
	s_and_saveexec_b32 s4, s1
	s_cbranch_execz .LBB5_17
; %bb.12:
	v_mov_b32_e32 v6, 0
	s_mov_b32 s5, exec_lo
	s_wait_kmcnt 0x0
	global_load_b64 v[10:11], v6, s[2:3] offset:24 scope:SCOPE_SYS
	s_wait_loadcnt 0x0
	global_inv scope:SCOPE_SYS
	s_clause 0x1
	global_load_b64 v[2:3], v6, s[2:3] offset:40
	global_load_b64 v[8:9], v6, s[2:3]
	s_wait_loadcnt 0x1
	v_and_b32_e32 v2, v2, v10
	v_and_b32_e32 v3, v3, v11
	s_delay_alu instid0(VALU_DEP_1) | instskip(SKIP_1) | instid1(VALU_DEP_1)
	v_mul_u64_e32 v[2:3], 24, v[2:3]
	s_wait_loadcnt 0x0
	v_add_nc_u64_e32 v[2:3], v[8:9], v[2:3]
	global_load_b64 v[8:9], v[2:3], off scope:SCOPE_SYS
	s_wait_xcnt 0x0
	s_wait_loadcnt 0x0
	global_atomic_cmpswap_b64 v[2:3], v6, v[8:11], s[2:3] offset:24 th:TH_ATOMIC_RETURN scope:SCOPE_SYS
	s_wait_loadcnt 0x0
	global_inv scope:SCOPE_SYS
	s_wait_xcnt 0x0
	v_cmpx_ne_u64_e64 v[2:3], v[10:11]
	s_cbranch_execz .LBB5_16
; %bb.13:
	s_mov_b32 s6, 0
.LBB5_14:                               ; =>This Inner Loop Header: Depth=1
	s_sleep 1
	s_clause 0x1
	global_load_b64 v[8:9], v6, s[2:3] offset:40
	global_load_b64 v[12:13], v6, s[2:3]
	v_mov_b64_e32 v[10:11], v[2:3]
	s_wait_loadcnt 0x1
	s_delay_alu instid0(VALU_DEP_1) | instskip(NEXT) | instid1(VALU_DEP_2)
	v_and_b32_e32 v2, v8, v10
	v_and_b32_e32 v7, v9, v11
	s_wait_loadcnt 0x0
	s_delay_alu instid0(VALU_DEP_2) | instskip(NEXT) | instid1(VALU_DEP_1)
	v_mad_nc_u64_u32 v[2:3], v2, 24, v[12:13]
	v_mad_u32 v3, v7, 24, v3
	global_load_b64 v[8:9], v[2:3], off scope:SCOPE_SYS
	s_wait_xcnt 0x0
	s_wait_loadcnt 0x0
	global_atomic_cmpswap_b64 v[2:3], v6, v[8:11], s[2:3] offset:24 th:TH_ATOMIC_RETURN scope:SCOPE_SYS
	s_wait_loadcnt 0x0
	global_inv scope:SCOPE_SYS
	v_cmp_eq_u64_e32 vcc_lo, v[2:3], v[10:11]
	s_or_b32 s6, vcc_lo, s6
	s_wait_xcnt 0x0
	s_and_not1_b32 exec_lo, exec_lo, s6
	s_cbranch_execnz .LBB5_14
; %bb.15:
	s_or_b32 exec_lo, exec_lo, s6
.LBB5_16:
	s_delay_alu instid0(SALU_CYCLE_1)
	s_or_b32 exec_lo, exec_lo, s5
.LBB5_17:
	s_delay_alu instid0(SALU_CYCLE_1)
	s_or_b32 exec_lo, exec_lo, s4
	v_readfirstlane_b32 s4, v2
	v_mov_b32_e32 v7, 0
	v_readfirstlane_b32 s5, v3
	s_mov_b32 s6, exec_lo
	s_wait_kmcnt 0x0
	s_clause 0x1
	global_load_b64 v[8:9], v7, s[2:3] offset:40
	global_load_b128 v[10:13], v7, s[2:3]
	s_wait_loadcnt 0x1
	v_and_b32_e32 v14, s4, v8
	v_and_b32_e32 v15, s5, v9
	s_delay_alu instid0(VALU_DEP_1) | instskip(SKIP_1) | instid1(VALU_DEP_1)
	v_mul_u64_e32 v[2:3], 24, v[14:15]
	s_wait_loadcnt 0x0
	v_add_nc_u64_e32 v[2:3], v[10:11], v[2:3]
	s_wait_xcnt 0x0
	s_and_saveexec_b32 s7, s1
	s_cbranch_execz .LBB5_19
; %bb.18:
	v_mov_b64_e32 v[8:9], 0x100000002
	v_mov_b32_e32 v6, s6
	global_store_b128 v[2:3], v[6:9], off offset:8
.LBB5_19:
	s_wait_xcnt 0x0
	s_or_b32 exec_lo, exec_lo, s7
	v_lshlrev_b64_e32 v[8:9], 12, v[14:15]
	s_mov_b32 s8, 0
	v_dual_lshlrev_b32 v6, 6, v5 :: v_dual_mov_b32 v14, 33
	s_mov_b32 s10, s8
	s_mov_b32 s11, s8
	s_mov_b32 s9, s8
	s_delay_alu instid0(VALU_DEP_2)
	v_add_nc_u64_e32 v[12:13], v[12:13], v[8:9]
	v_mov_b64_e32 v[20:21], s[10:11]
	v_mov_b64_e32 v[18:19], s[8:9]
	v_dual_mov_b32 v15, v7 :: v_dual_mov_b32 v16, v7
	v_mov_b32_e32 v17, v7
	v_readfirstlane_b32 s6, v12
	v_readfirstlane_b32 s7, v13
	s_clause 0x3
	global_store_b128 v6, v[14:17], s[6:7]
	global_store_b128 v6, v[18:21], s[6:7] offset:16
	global_store_b128 v6, v[18:21], s[6:7] offset:32
	global_store_b128 v6, v[18:21], s[6:7] offset:48
	s_wait_xcnt 0x0
	s_and_saveexec_b32 s6, s1
	s_cbranch_execz .LBB5_26
; %bb.20:
	v_dual_mov_b32 v16, 0 :: v_dual_mov_b32 v19, s5
	s_mov_b32 s7, exec_lo
	s_clause 0x1
	global_load_b64 v[20:21], v16, s[2:3] offset:32 scope:SCOPE_SYS
	global_load_b64 v[8:9], v16, s[2:3] offset:40
	s_wait_loadcnt 0x0
	v_dual_mov_b32 v18, s4 :: v_dual_bitop2_b32 v9, s5, v9 bitop3:0x40
	v_and_b32_e32 v8, s4, v8
	s_delay_alu instid0(VALU_DEP_1) | instskip(NEXT) | instid1(VALU_DEP_1)
	v_mul_u64_e32 v[8:9], 24, v[8:9]
	v_add_nc_u64_e32 v[14:15], v[10:11], v[8:9]
	global_store_b64 v[14:15], v[20:21], off
	global_wb scope:SCOPE_SYS
	s_wait_storecnt 0x0
	s_wait_xcnt 0x0
	global_atomic_cmpswap_b64 v[10:11], v16, v[18:21], s[2:3] offset:32 th:TH_ATOMIC_RETURN scope:SCOPE_SYS
	s_wait_loadcnt 0x0
	v_cmpx_ne_u64_e64 v[10:11], v[20:21]
	s_cbranch_execz .LBB5_22
.LBB5_21:                               ; =>This Inner Loop Header: Depth=1
	v_dual_mov_b32 v8, s4 :: v_dual_mov_b32 v9, s5
	s_sleep 1
	global_store_b64 v[14:15], v[10:11], off
	global_wb scope:SCOPE_SYS
	s_wait_storecnt 0x0
	s_wait_xcnt 0x0
	global_atomic_cmpswap_b64 v[8:9], v16, v[8:11], s[2:3] offset:32 th:TH_ATOMIC_RETURN scope:SCOPE_SYS
	s_wait_loadcnt 0x0
	v_cmp_eq_u64_e32 vcc_lo, v[8:9], v[10:11]
	v_mov_b64_e32 v[10:11], v[8:9]
	s_or_b32 s8, vcc_lo, s8
	s_delay_alu instid0(SALU_CYCLE_1)
	s_and_not1_b32 exec_lo, exec_lo, s8
	s_cbranch_execnz .LBB5_21
.LBB5_22:
	s_or_b32 exec_lo, exec_lo, s7
	v_mov_b32_e32 v11, 0
	s_mov_b32 s8, exec_lo
	s_mov_b32 s7, exec_lo
	v_mbcnt_lo_u32_b32 v10, s8, 0
	global_load_b64 v[8:9], v11, s[2:3] offset:16
	s_wait_xcnt 0x0
	v_cmpx_eq_u32_e32 0, v10
	s_cbranch_execz .LBB5_24
; %bb.23:
	s_bcnt1_i32_b32 s8, s8
	s_delay_alu instid0(SALU_CYCLE_1)
	v_mov_b32_e32 v10, s8
	global_wb scope:SCOPE_SYS
	s_wait_loadcnt 0x0
	s_wait_storecnt 0x0
	global_atomic_add_u64 v[8:9], v[10:11], off offset:8 scope:SCOPE_SYS
.LBB5_24:
	s_wait_xcnt 0x0
	s_or_b32 exec_lo, exec_lo, s7
	s_wait_loadcnt 0x0
	global_load_b64 v[10:11], v[8:9], off offset:16
	s_wait_loadcnt 0x0
	v_cmp_eq_u64_e32 vcc_lo, 0, v[10:11]
	s_cbranch_vccnz .LBB5_26
; %bb.25:
	global_load_b32 v8, v[8:9], off offset:24
	s_wait_xcnt 0x0
	v_mov_b32_e32 v9, 0
	s_wait_loadcnt 0x0
	v_readfirstlane_b32 s7, v8
	global_wb scope:SCOPE_SYS
	s_wait_storecnt 0x0
	global_store_b64 v[10:11], v[8:9], off scope:SCOPE_SYS
	s_and_b32 m0, s7, 0xffffff
	s_sendmsg sendmsg(MSG_INTERRUPT)
.LBB5_26:
	s_wait_xcnt 0x0
	s_or_b32 exec_lo, exec_lo, s6
	v_add_nc_u64_e32 v[8:9], v[12:13], v[6:7]
	s_branch .LBB5_30
.LBB5_27:                               ;   in Loop: Header=BB5_30 Depth=1
	s_wait_xcnt 0x0
	s_or_b32 exec_lo, exec_lo, s6
	s_delay_alu instid0(VALU_DEP_1)
	v_readfirstlane_b32 s6, v7
	s_cmp_eq_u32 s6, 0
	s_cbranch_scc1 .LBB5_29
; %bb.28:                               ;   in Loop: Header=BB5_30 Depth=1
	s_sleep 1
	s_cbranch_execnz .LBB5_30
	s_branch .LBB5_32
.LBB5_29:
	s_branch .LBB5_32
.LBB5_30:                               ; =>This Inner Loop Header: Depth=1
	v_mov_b32_e32 v7, 1
	s_and_saveexec_b32 s6, s1
	s_cbranch_execz .LBB5_27
; %bb.31:                               ;   in Loop: Header=BB5_30 Depth=1
	global_load_b32 v7, v[2:3], off offset:20 scope:SCOPE_SYS
	s_wait_loadcnt 0x0
	global_inv scope:SCOPE_SYS
	v_and_b32_e32 v7, 1, v7
	s_branch .LBB5_27
.LBB5_32:
	global_load_b64 v[8:9], v[8:9], off
	s_wait_xcnt 0x0
	s_and_saveexec_b32 s6, s1
	s_cbranch_execz .LBB5_36
; %bb.33:
	v_mov_b32_e32 v7, 0
	s_clause 0x2
	global_load_b64 v[2:3], v7, s[2:3] offset:40
	global_load_b64 v[14:15], v7, s[2:3] offset:24 scope:SCOPE_SYS
	global_load_b64 v[10:11], v7, s[2:3]
	s_wait_loadcnt 0x2
	v_readfirstlane_b32 s8, v2
	v_readfirstlane_b32 s9, v3
	s_add_nc_u64 s[10:11], s[8:9], 1
	s_delay_alu instid0(SALU_CYCLE_1) | instskip(NEXT) | instid1(SALU_CYCLE_1)
	s_add_nc_u64 s[4:5], s[10:11], s[4:5]
	s_cmp_eq_u64 s[4:5], 0
	s_cselect_b32 s5, s11, s5
	s_cselect_b32 s4, s10, s4
	v_mov_b32_e32 v13, s5
	s_and_b64 s[8:9], s[4:5], s[8:9]
	v_mov_b32_e32 v12, s4
	s_mul_u64 s[8:9], s[8:9], 24
	s_wait_loadcnt 0x0
	v_add_nc_u64_e32 v[2:3], s[8:9], v[10:11]
	global_store_b64 v[2:3], v[14:15], off
	global_wb scope:SCOPE_SYS
	s_wait_storecnt 0x0
	s_wait_xcnt 0x0
	global_atomic_cmpswap_b64 v[12:13], v7, v[12:15], s[2:3] offset:24 th:TH_ATOMIC_RETURN scope:SCOPE_SYS
	s_wait_loadcnt 0x0
	v_cmp_ne_u64_e32 vcc_lo, v[12:13], v[14:15]
	s_and_b32 exec_lo, exec_lo, vcc_lo
	s_cbranch_execz .LBB5_36
; %bb.34:
	s_mov_b32 s1, 0
.LBB5_35:                               ; =>This Inner Loop Header: Depth=1
	v_dual_mov_b32 v10, s4 :: v_dual_mov_b32 v11, s5
	s_sleep 1
	global_store_b64 v[2:3], v[12:13], off
	global_wb scope:SCOPE_SYS
	s_wait_storecnt 0x0
	s_wait_xcnt 0x0
	global_atomic_cmpswap_b64 v[10:11], v7, v[10:13], s[2:3] offset:24 th:TH_ATOMIC_RETURN scope:SCOPE_SYS
	s_wait_loadcnt 0x0
	v_cmp_eq_u64_e32 vcc_lo, v[10:11], v[12:13]
	v_mov_b64_e32 v[12:13], v[10:11]
	s_or_b32 s1, vcc_lo, s1
	s_delay_alu instid0(SALU_CYCLE_1)
	s_and_not1_b32 exec_lo, exec_lo, s1
	s_cbranch_execnz .LBB5_35
.LBB5_36:
	s_or_b32 exec_lo, exec_lo, s6
	s_get_pc_i64 s[4:5]
	s_add_nc_u64 s[4:5], s[4:5], .str.45@rel64+4
	s_delay_alu instid0(SALU_CYCLE_1)
	s_cmp_lg_u64 s[4:5], 0
	s_cbranch_scc0 .LBB5_115
; %bb.37:
	v_mov_b64_e32 v[16:17], 0x100000002
	s_wait_loadcnt 0x0
	v_dual_mov_b32 v15, 0 :: v_dual_bitop2_b32 v2, 2, v8 bitop3:0x40
	v_dual_mov_b32 v11, v9 :: v_dual_bitop2_b32 v10, -3, v8 bitop3:0x40
	s_mov_b64 s[6:7], 7
	s_branch .LBB5_39
.LBB5_38:                               ;   in Loop: Header=BB5_39 Depth=1
	s_or_b32 exec_lo, exec_lo, s12
	s_sub_nc_u64 s[6:7], s[6:7], s[8:9]
	s_add_nc_u64 s[4:5], s[4:5], s[8:9]
	s_cmp_lg_u64 s[6:7], 0
	s_cbranch_scc0 .LBB5_114
.LBB5_39:                               ; =>This Loop Header: Depth=1
                                        ;     Child Loop BB5_42 Depth 2
                                        ;     Child Loop BB5_49 Depth 2
                                        ;     Child Loop BB5_56 Depth 2
                                        ;     Child Loop BB5_63 Depth 2
                                        ;     Child Loop BB5_70 Depth 2
                                        ;     Child Loop BB5_77 Depth 2
                                        ;     Child Loop BB5_84 Depth 2
                                        ;     Child Loop BB5_91 Depth 2
                                        ;     Child Loop BB5_99 Depth 2
                                        ;     Child Loop BB5_108 Depth 2
                                        ;     Child Loop BB5_113 Depth 2
	v_min_u64 v[12:13], s[6:7], 56
	v_cmp_gt_u64_e64 s1, s[6:7], 7
	s_and_b32 vcc_lo, exec_lo, s1
	v_readfirstlane_b32 s8, v12
	v_readfirstlane_b32 s9, v13
	s_cbranch_vccnz .LBB5_44
; %bb.40:                               ;   in Loop: Header=BB5_39 Depth=1
	v_mov_b64_e32 v[12:13], 0
	s_cmp_eq_u64 s[6:7], 0
	s_cbranch_scc1 .LBB5_43
; %bb.41:                               ;   in Loop: Header=BB5_39 Depth=1
	s_mov_b64 s[10:11], 0
	s_mov_b64 s[12:13], 0
.LBB5_42:                               ;   Parent Loop BB5_39 Depth=1
                                        ; =>  This Inner Loop Header: Depth=2
	s_wait_xcnt 0x0
	s_add_nc_u64 s[14:15], s[4:5], s[12:13]
	s_add_nc_u64 s[12:13], s[12:13], 1
	global_load_u8 v3, v15, s[14:15]
	s_cmp_lg_u32 s8, s12
	s_wait_loadcnt 0x0
	v_and_b32_e32 v14, 0xffff, v3
	s_delay_alu instid0(VALU_DEP_1) | instskip(SKIP_1) | instid1(VALU_DEP_1)
	v_lshlrev_b64_e32 v[18:19], s10, v[14:15]
	s_add_nc_u64 s[10:11], s[10:11], 8
	v_or_b32_e32 v12, v18, v12
	s_delay_alu instid0(VALU_DEP_2)
	v_or_b32_e32 v13, v19, v13
	s_cbranch_scc1 .LBB5_42
.LBB5_43:                               ;   in Loop: Header=BB5_39 Depth=1
	s_mov_b64 s[12:13], s[4:5]
	s_mov_b32 s1, 0
	s_cbranch_execz .LBB5_45
	s_branch .LBB5_46
.LBB5_44:                               ;   in Loop: Header=BB5_39 Depth=1
	s_add_nc_u64 s[12:13], s[4:5], 8
	s_mov_b32 s1, 0
.LBB5_45:                               ;   in Loop: Header=BB5_39 Depth=1
	global_load_b64 v[12:13], v15, s[4:5]
	s_add_co_i32 s1, s8, -8
.LBB5_46:                               ;   in Loop: Header=BB5_39 Depth=1
	s_delay_alu instid0(SALU_CYCLE_1)
	s_cmp_gt_u32 s1, 7
	s_cbranch_scc1 .LBB5_51
; %bb.47:                               ;   in Loop: Header=BB5_39 Depth=1
	v_mov_b64_e32 v[18:19], 0
	s_cmp_eq_u32 s1, 0
	s_cbranch_scc1 .LBB5_50
; %bb.48:                               ;   in Loop: Header=BB5_39 Depth=1
	s_mov_b64 s[10:11], 0
	s_wait_xcnt 0x0
	s_mov_b64 s[14:15], 0
.LBB5_49:                               ;   Parent Loop BB5_39 Depth=1
                                        ; =>  This Inner Loop Header: Depth=2
	s_wait_xcnt 0x0
	s_add_nc_u64 s[20:21], s[12:13], s[14:15]
	s_add_nc_u64 s[14:15], s[14:15], 1
	global_load_u8 v3, v15, s[20:21]
	s_cmp_lg_u32 s1, s14
	s_wait_loadcnt 0x0
	v_and_b32_e32 v14, 0xffff, v3
	s_delay_alu instid0(VALU_DEP_1) | instskip(SKIP_1) | instid1(VALU_DEP_1)
	v_lshlrev_b64_e32 v[20:21], s10, v[14:15]
	s_add_nc_u64 s[10:11], s[10:11], 8
	v_or_b32_e32 v18, v20, v18
	s_delay_alu instid0(VALU_DEP_2)
	v_or_b32_e32 v19, v21, v19
	s_cbranch_scc1 .LBB5_49
.LBB5_50:                               ;   in Loop: Header=BB5_39 Depth=1
	s_wait_xcnt 0x0
	s_mov_b64 s[10:11], s[12:13]
	s_mov_b32 s19, 0
	s_cbranch_execz .LBB5_52
	s_branch .LBB5_53
.LBB5_51:                               ;   in Loop: Header=BB5_39 Depth=1
	s_add_nc_u64 s[10:11], s[12:13], 8
	s_wait_xcnt 0x0
                                        ; implicit-def: $vgpr18_vgpr19
	s_mov_b32 s19, 0
.LBB5_52:                               ;   in Loop: Header=BB5_39 Depth=1
	global_load_b64 v[18:19], v15, s[12:13]
	s_add_co_i32 s19, s1, -8
.LBB5_53:                               ;   in Loop: Header=BB5_39 Depth=1
	s_delay_alu instid0(SALU_CYCLE_1)
	s_cmp_gt_u32 s19, 7
	s_cbranch_scc1 .LBB5_58
; %bb.54:                               ;   in Loop: Header=BB5_39 Depth=1
	v_mov_b64_e32 v[20:21], 0
	s_cmp_eq_u32 s19, 0
	s_cbranch_scc1 .LBB5_57
; %bb.55:                               ;   in Loop: Header=BB5_39 Depth=1
	s_wait_xcnt 0x0
	s_mov_b64 s[12:13], 0
	s_mov_b64 s[14:15], 0
.LBB5_56:                               ;   Parent Loop BB5_39 Depth=1
                                        ; =>  This Inner Loop Header: Depth=2
	s_wait_xcnt 0x0
	s_add_nc_u64 s[20:21], s[10:11], s[14:15]
	s_add_nc_u64 s[14:15], s[14:15], 1
	global_load_u8 v3, v15, s[20:21]
	s_cmp_lg_u32 s19, s14
	s_wait_loadcnt 0x0
	v_and_b32_e32 v14, 0xffff, v3
	s_delay_alu instid0(VALU_DEP_1) | instskip(SKIP_1) | instid1(VALU_DEP_1)
	v_lshlrev_b64_e32 v[22:23], s12, v[14:15]
	s_add_nc_u64 s[12:13], s[12:13], 8
	v_or_b32_e32 v20, v22, v20
	s_delay_alu instid0(VALU_DEP_2)
	v_or_b32_e32 v21, v23, v21
	s_cbranch_scc1 .LBB5_56
.LBB5_57:                               ;   in Loop: Header=BB5_39 Depth=1
	s_wait_xcnt 0x0
	s_mov_b64 s[12:13], s[10:11]
	s_mov_b32 s1, 0
	s_cbranch_execz .LBB5_59
	s_branch .LBB5_60
.LBB5_58:                               ;   in Loop: Header=BB5_39 Depth=1
	s_wait_xcnt 0x0
	s_add_nc_u64 s[12:13], s[10:11], 8
	s_mov_b32 s1, 0
.LBB5_59:                               ;   in Loop: Header=BB5_39 Depth=1
	global_load_b64 v[20:21], v15, s[10:11]
	s_add_co_i32 s1, s19, -8
.LBB5_60:                               ;   in Loop: Header=BB5_39 Depth=1
	s_delay_alu instid0(SALU_CYCLE_1)
	s_cmp_gt_u32 s1, 7
	s_cbranch_scc1 .LBB5_65
; %bb.61:                               ;   in Loop: Header=BB5_39 Depth=1
	v_mov_b64_e32 v[22:23], 0
	s_cmp_eq_u32 s1, 0
	s_cbranch_scc1 .LBB5_64
; %bb.62:                               ;   in Loop: Header=BB5_39 Depth=1
	s_wait_xcnt 0x0
	s_mov_b64 s[10:11], 0
	s_mov_b64 s[14:15], 0
.LBB5_63:                               ;   Parent Loop BB5_39 Depth=1
                                        ; =>  This Inner Loop Header: Depth=2
	s_wait_xcnt 0x0
	s_add_nc_u64 s[20:21], s[12:13], s[14:15]
	s_add_nc_u64 s[14:15], s[14:15], 1
	global_load_u8 v3, v15, s[20:21]
	s_cmp_lg_u32 s1, s14
	s_wait_loadcnt 0x0
	v_and_b32_e32 v14, 0xffff, v3
	s_delay_alu instid0(VALU_DEP_1) | instskip(SKIP_1) | instid1(VALU_DEP_1)
	v_lshlrev_b64_e32 v[24:25], s10, v[14:15]
	s_add_nc_u64 s[10:11], s[10:11], 8
	v_or_b32_e32 v22, v24, v22
	s_delay_alu instid0(VALU_DEP_2)
	v_or_b32_e32 v23, v25, v23
	s_cbranch_scc1 .LBB5_63
.LBB5_64:                               ;   in Loop: Header=BB5_39 Depth=1
	s_wait_xcnt 0x0
	s_mov_b64 s[10:11], s[12:13]
	s_mov_b32 s19, 0
	s_cbranch_execz .LBB5_66
	s_branch .LBB5_67
.LBB5_65:                               ;   in Loop: Header=BB5_39 Depth=1
	s_wait_xcnt 0x0
	s_add_nc_u64 s[10:11], s[12:13], 8
                                        ; implicit-def: $vgpr22_vgpr23
	s_mov_b32 s19, 0
.LBB5_66:                               ;   in Loop: Header=BB5_39 Depth=1
	global_load_b64 v[22:23], v15, s[12:13]
	s_add_co_i32 s19, s1, -8
.LBB5_67:                               ;   in Loop: Header=BB5_39 Depth=1
	s_delay_alu instid0(SALU_CYCLE_1)
	s_cmp_gt_u32 s19, 7
	s_cbranch_scc1 .LBB5_72
; %bb.68:                               ;   in Loop: Header=BB5_39 Depth=1
	v_mov_b64_e32 v[24:25], 0
	s_cmp_eq_u32 s19, 0
	s_cbranch_scc1 .LBB5_71
; %bb.69:                               ;   in Loop: Header=BB5_39 Depth=1
	s_wait_xcnt 0x0
	s_mov_b64 s[12:13], 0
	s_mov_b64 s[14:15], 0
.LBB5_70:                               ;   Parent Loop BB5_39 Depth=1
                                        ; =>  This Inner Loop Header: Depth=2
	s_wait_xcnt 0x0
	s_add_nc_u64 s[20:21], s[10:11], s[14:15]
	s_add_nc_u64 s[14:15], s[14:15], 1
	global_load_u8 v3, v15, s[20:21]
	s_cmp_lg_u32 s19, s14
	s_wait_loadcnt 0x0
	v_and_b32_e32 v14, 0xffff, v3
	s_delay_alu instid0(VALU_DEP_1) | instskip(SKIP_1) | instid1(VALU_DEP_1)
	v_lshlrev_b64_e32 v[26:27], s12, v[14:15]
	s_add_nc_u64 s[12:13], s[12:13], 8
	v_or_b32_e32 v24, v26, v24
	s_delay_alu instid0(VALU_DEP_2)
	v_or_b32_e32 v25, v27, v25
	s_cbranch_scc1 .LBB5_70
.LBB5_71:                               ;   in Loop: Header=BB5_39 Depth=1
	s_wait_xcnt 0x0
	s_mov_b64 s[12:13], s[10:11]
	s_mov_b32 s1, 0
	s_cbranch_execz .LBB5_73
	s_branch .LBB5_74
.LBB5_72:                               ;   in Loop: Header=BB5_39 Depth=1
	s_wait_xcnt 0x0
	s_add_nc_u64 s[12:13], s[10:11], 8
	s_mov_b32 s1, 0
.LBB5_73:                               ;   in Loop: Header=BB5_39 Depth=1
	global_load_b64 v[24:25], v15, s[10:11]
	s_add_co_i32 s1, s19, -8
.LBB5_74:                               ;   in Loop: Header=BB5_39 Depth=1
	s_delay_alu instid0(SALU_CYCLE_1)
	s_cmp_gt_u32 s1, 7
	s_cbranch_scc1 .LBB5_79
; %bb.75:                               ;   in Loop: Header=BB5_39 Depth=1
	v_mov_b64_e32 v[26:27], 0
	s_cmp_eq_u32 s1, 0
	s_cbranch_scc1 .LBB5_78
; %bb.76:                               ;   in Loop: Header=BB5_39 Depth=1
	s_wait_xcnt 0x0
	s_mov_b64 s[10:11], 0
	s_mov_b64 s[14:15], 0
.LBB5_77:                               ;   Parent Loop BB5_39 Depth=1
                                        ; =>  This Inner Loop Header: Depth=2
	s_wait_xcnt 0x0
	s_add_nc_u64 s[20:21], s[12:13], s[14:15]
	s_add_nc_u64 s[14:15], s[14:15], 1
	global_load_u8 v3, v15, s[20:21]
	s_cmp_lg_u32 s1, s14
	s_wait_loadcnt 0x0
	v_and_b32_e32 v14, 0xffff, v3
	s_delay_alu instid0(VALU_DEP_1) | instskip(SKIP_1) | instid1(VALU_DEP_1)
	v_lshlrev_b64_e32 v[28:29], s10, v[14:15]
	s_add_nc_u64 s[10:11], s[10:11], 8
	v_or_b32_e32 v26, v28, v26
	s_delay_alu instid0(VALU_DEP_2)
	v_or_b32_e32 v27, v29, v27
	s_cbranch_scc1 .LBB5_77
.LBB5_78:                               ;   in Loop: Header=BB5_39 Depth=1
	s_wait_xcnt 0x0
	s_mov_b64 s[10:11], s[12:13]
	s_mov_b32 s19, 0
	s_cbranch_execz .LBB5_80
	s_branch .LBB5_81
.LBB5_79:                               ;   in Loop: Header=BB5_39 Depth=1
	s_wait_xcnt 0x0
	s_add_nc_u64 s[10:11], s[12:13], 8
                                        ; implicit-def: $vgpr26_vgpr27
	s_mov_b32 s19, 0
.LBB5_80:                               ;   in Loop: Header=BB5_39 Depth=1
	global_load_b64 v[26:27], v15, s[12:13]
	s_add_co_i32 s19, s1, -8
.LBB5_81:                               ;   in Loop: Header=BB5_39 Depth=1
	s_delay_alu instid0(SALU_CYCLE_1)
	s_cmp_gt_u32 s19, 7
	s_cbranch_scc1 .LBB5_86
; %bb.82:                               ;   in Loop: Header=BB5_39 Depth=1
	v_mov_b64_e32 v[28:29], 0
	s_cmp_eq_u32 s19, 0
	s_cbranch_scc1 .LBB5_85
; %bb.83:                               ;   in Loop: Header=BB5_39 Depth=1
	s_wait_xcnt 0x0
	s_mov_b64 s[12:13], 0
	s_mov_b64 s[14:15], s[10:11]
.LBB5_84:                               ;   Parent Loop BB5_39 Depth=1
                                        ; =>  This Inner Loop Header: Depth=2
	global_load_u8 v3, v15, s[14:15]
	s_add_co_i32 s19, s19, -1
	s_wait_xcnt 0x0
	s_add_nc_u64 s[14:15], s[14:15], 1
	s_cmp_lg_u32 s19, 0
	s_wait_loadcnt 0x0
	v_and_b32_e32 v14, 0xffff, v3
	s_delay_alu instid0(VALU_DEP_1) | instskip(SKIP_1) | instid1(VALU_DEP_1)
	v_lshlrev_b64_e32 v[30:31], s12, v[14:15]
	s_add_nc_u64 s[12:13], s[12:13], 8
	v_or_b32_e32 v28, v30, v28
	s_delay_alu instid0(VALU_DEP_2)
	v_or_b32_e32 v29, v31, v29
	s_cbranch_scc1 .LBB5_84
.LBB5_85:                               ;   in Loop: Header=BB5_39 Depth=1
	s_cbranch_execz .LBB5_87
	s_branch .LBB5_88
.LBB5_86:                               ;   in Loop: Header=BB5_39 Depth=1
.LBB5_87:                               ;   in Loop: Header=BB5_39 Depth=1
	global_load_b64 v[28:29], v15, s[10:11]
.LBB5_88:                               ;   in Loop: Header=BB5_39 Depth=1
	v_readfirstlane_b32 s1, v5
	v_mov_b64_e32 v[34:35], 0
	s_delay_alu instid0(VALU_DEP_2)
	v_cmp_eq_u32_e64 s1, s1, v5
	s_wait_xcnt 0x0
	s_and_saveexec_b32 s10, s1
	s_cbranch_execz .LBB5_94
; %bb.89:                               ;   in Loop: Header=BB5_39 Depth=1
	global_load_b64 v[32:33], v15, s[2:3] offset:24 scope:SCOPE_SYS
	s_wait_loadcnt 0x0
	global_inv scope:SCOPE_SYS
	s_clause 0x1
	global_load_b64 v[30:31], v15, s[2:3] offset:40
	global_load_b64 v[34:35], v15, s[2:3]
	s_mov_b32 s11, exec_lo
	s_wait_loadcnt 0x1
	v_and_b32_e32 v30, v30, v32
	v_and_b32_e32 v31, v31, v33
	s_delay_alu instid0(VALU_DEP_1) | instskip(SKIP_1) | instid1(VALU_DEP_1)
	v_mul_u64_e32 v[30:31], 24, v[30:31]
	s_wait_loadcnt 0x0
	v_add_nc_u64_e32 v[30:31], v[34:35], v[30:31]
	global_load_b64 v[30:31], v[30:31], off scope:SCOPE_SYS
	s_wait_xcnt 0x0
	s_wait_loadcnt 0x0
	global_atomic_cmpswap_b64 v[34:35], v15, v[30:33], s[2:3] offset:24 th:TH_ATOMIC_RETURN scope:SCOPE_SYS
	s_wait_loadcnt 0x0
	global_inv scope:SCOPE_SYS
	s_wait_xcnt 0x0
	v_cmpx_ne_u64_e64 v[34:35], v[32:33]
	s_cbranch_execz .LBB5_93
; %bb.90:                               ;   in Loop: Header=BB5_39 Depth=1
	s_mov_b32 s12, 0
.LBB5_91:                               ;   Parent Loop BB5_39 Depth=1
                                        ; =>  This Inner Loop Header: Depth=2
	s_sleep 1
	s_clause 0x1
	global_load_b64 v[30:31], v15, s[2:3] offset:40
	global_load_b64 v[36:37], v15, s[2:3]
	v_mov_b64_e32 v[32:33], v[34:35]
	s_wait_loadcnt 0x1
	s_delay_alu instid0(VALU_DEP_1) | instskip(SKIP_1) | instid1(VALU_DEP_1)
	v_and_b32_e32 v3, v30, v32
	s_wait_loadcnt 0x0
	v_mad_nc_u64_u32 v[34:35], v3, 24, v[36:37]
	s_delay_alu instid0(VALU_DEP_3) | instskip(NEXT) | instid1(VALU_DEP_1)
	v_and_b32_e32 v3, v31, v33
	v_mad_u32 v35, v3, 24, v35
	global_load_b64 v[30:31], v[34:35], off scope:SCOPE_SYS
	s_wait_xcnt 0x0
	s_wait_loadcnt 0x0
	global_atomic_cmpswap_b64 v[34:35], v15, v[30:33], s[2:3] offset:24 th:TH_ATOMIC_RETURN scope:SCOPE_SYS
	s_wait_loadcnt 0x0
	global_inv scope:SCOPE_SYS
	v_cmp_eq_u64_e32 vcc_lo, v[34:35], v[32:33]
	s_or_b32 s12, vcc_lo, s12
	s_wait_xcnt 0x0
	s_and_not1_b32 exec_lo, exec_lo, s12
	s_cbranch_execnz .LBB5_91
; %bb.92:                               ;   in Loop: Header=BB5_39 Depth=1
	s_or_b32 exec_lo, exec_lo, s12
.LBB5_93:                               ;   in Loop: Header=BB5_39 Depth=1
	s_delay_alu instid0(SALU_CYCLE_1)
	s_or_b32 exec_lo, exec_lo, s11
.LBB5_94:                               ;   in Loop: Header=BB5_39 Depth=1
	s_delay_alu instid0(SALU_CYCLE_1)
	s_or_b32 exec_lo, exec_lo, s10
	s_clause 0x1
	global_load_b64 v[36:37], v15, s[2:3] offset:40
	global_load_b128 v[30:33], v15, s[2:3]
	v_readfirstlane_b32 s10, v34
	v_readfirstlane_b32 s11, v35
	s_mov_b32 s12, exec_lo
	s_wait_loadcnt 0x1
	v_and_b32_e32 v36, s10, v36
	v_and_b32_e32 v37, s11, v37
	s_delay_alu instid0(VALU_DEP_1) | instskip(SKIP_1) | instid1(VALU_DEP_1)
	v_mul_u64_e32 v[34:35], 24, v[36:37]
	s_wait_loadcnt 0x0
	v_add_nc_u64_e32 v[34:35], v[30:31], v[34:35]
	s_wait_xcnt 0x0
	s_and_saveexec_b32 s13, s1
	s_cbranch_execz .LBB5_96
; %bb.95:                               ;   in Loop: Header=BB5_39 Depth=1
	v_mov_b32_e32 v14, s12
	global_store_b128 v[34:35], v[14:17], off offset:8
.LBB5_96:                               ;   in Loop: Header=BB5_39 Depth=1
	s_wait_xcnt 0x0
	s_or_b32 exec_lo, exec_lo, s13
	v_cmp_lt_u64_e64 vcc_lo, s[6:7], 57
	v_lshlrev_b64_e32 v[36:37], 12, v[36:37]
	v_and_b32_e32 v7, 0xffffff1f, v10
	s_lshl_b32 s12, s8, 2
	s_delay_alu instid0(SALU_CYCLE_1) | instskip(SKIP_1) | instid1(VALU_DEP_3)
	s_add_co_i32 s12, s12, 28
	v_cndmask_b32_e32 v3, 0, v2, vcc_lo
	v_add_nc_u64_e32 v[32:33], v[32:33], v[36:37]
	s_delay_alu instid0(VALU_DEP_2) | instskip(NEXT) | instid1(VALU_DEP_2)
	v_or_b32_e32 v3, v7, v3
	v_readfirstlane_b32 s13, v33
	s_delay_alu instid0(VALU_DEP_2) | instskip(NEXT) | instid1(VALU_DEP_4)
	v_and_or_b32 v10, 0x1e0, s12, v3
	v_readfirstlane_b32 s12, v32
	s_clause 0x3
	global_store_b128 v6, v[10:13], s[12:13]
	global_store_b128 v6, v[18:21], s[12:13] offset:16
	global_store_b128 v6, v[22:25], s[12:13] offset:32
	;; [unrolled: 1-line block ×3, first 2 shown]
	s_wait_xcnt 0x0
	s_and_saveexec_b32 s12, s1
	s_cbranch_execz .LBB5_104
; %bb.97:                               ;   in Loop: Header=BB5_39 Depth=1
	s_clause 0x1
	global_load_b64 v[22:23], v15, s[2:3] offset:32 scope:SCOPE_SYS
	global_load_b64 v[10:11], v15, s[2:3] offset:40
	s_mov_b32 s13, exec_lo
	v_dual_mov_b32 v20, s10 :: v_dual_mov_b32 v21, s11
	s_wait_loadcnt 0x0
	v_and_b32_e32 v11, s11, v11
	v_and_b32_e32 v10, s10, v10
	s_delay_alu instid0(VALU_DEP_1) | instskip(NEXT) | instid1(VALU_DEP_1)
	v_mul_u64_e32 v[10:11], 24, v[10:11]
	v_add_nc_u64_e32 v[18:19], v[30:31], v[10:11]
	global_store_b64 v[18:19], v[22:23], off
	global_wb scope:SCOPE_SYS
	s_wait_storecnt 0x0
	s_wait_xcnt 0x0
	global_atomic_cmpswap_b64 v[12:13], v15, v[20:23], s[2:3] offset:32 th:TH_ATOMIC_RETURN scope:SCOPE_SYS
	s_wait_loadcnt 0x0
	v_cmpx_ne_u64_e64 v[12:13], v[22:23]
	s_cbranch_execz .LBB5_100
; %bb.98:                               ;   in Loop: Header=BB5_39 Depth=1
	s_mov_b32 s14, 0
.LBB5_99:                               ;   Parent Loop BB5_39 Depth=1
                                        ; =>  This Inner Loop Header: Depth=2
	v_dual_mov_b32 v10, s10 :: v_dual_mov_b32 v11, s11
	s_sleep 1
	global_store_b64 v[18:19], v[12:13], off
	global_wb scope:SCOPE_SYS
	s_wait_storecnt 0x0
	s_wait_xcnt 0x0
	global_atomic_cmpswap_b64 v[10:11], v15, v[10:13], s[2:3] offset:32 th:TH_ATOMIC_RETURN scope:SCOPE_SYS
	s_wait_loadcnt 0x0
	v_cmp_eq_u64_e32 vcc_lo, v[10:11], v[12:13]
	v_mov_b64_e32 v[12:13], v[10:11]
	s_or_b32 s14, vcc_lo, s14
	s_delay_alu instid0(SALU_CYCLE_1)
	s_and_not1_b32 exec_lo, exec_lo, s14
	s_cbranch_execnz .LBB5_99
.LBB5_100:                              ;   in Loop: Header=BB5_39 Depth=1
	s_or_b32 exec_lo, exec_lo, s13
	global_load_b64 v[10:11], v15, s[2:3] offset:16
	s_mov_b32 s14, exec_lo
	s_mov_b32 s13, exec_lo
	v_mbcnt_lo_u32_b32 v3, s14, 0
	s_wait_xcnt 0x0
	s_delay_alu instid0(VALU_DEP_1)
	v_cmpx_eq_u32_e32 0, v3
	s_cbranch_execz .LBB5_102
; %bb.101:                              ;   in Loop: Header=BB5_39 Depth=1
	s_bcnt1_i32_b32 s14, s14
	s_delay_alu instid0(SALU_CYCLE_1)
	v_mov_b32_e32 v14, s14
	global_wb scope:SCOPE_SYS
	s_wait_loadcnt 0x0
	s_wait_storecnt 0x0
	global_atomic_add_u64 v[10:11], v[14:15], off offset:8 scope:SCOPE_SYS
.LBB5_102:                              ;   in Loop: Header=BB5_39 Depth=1
	s_wait_xcnt 0x0
	s_or_b32 exec_lo, exec_lo, s13
	s_wait_loadcnt 0x0
	global_load_b64 v[12:13], v[10:11], off offset:16
	s_wait_loadcnt 0x0
	v_cmp_eq_u64_e32 vcc_lo, 0, v[12:13]
	s_cbranch_vccnz .LBB5_104
; %bb.103:                              ;   in Loop: Header=BB5_39 Depth=1
	global_load_b32 v14, v[10:11], off offset:24
	s_wait_loadcnt 0x0
	v_readfirstlane_b32 s13, v14
	global_wb scope:SCOPE_SYS
	s_wait_storecnt 0x0
	s_wait_xcnt 0x0
	global_store_b64 v[12:13], v[14:15], off scope:SCOPE_SYS
	s_and_b32 m0, s13, 0xffffff
	s_sendmsg sendmsg(MSG_INTERRUPT)
.LBB5_104:                              ;   in Loop: Header=BB5_39 Depth=1
	s_wait_xcnt 0x0
	s_or_b32 exec_lo, exec_lo, s12
	v_mov_b32_e32 v7, v15
	s_delay_alu instid0(VALU_DEP_1)
	v_add_nc_u64_e32 v[10:11], v[32:33], v[6:7]
	s_branch .LBB5_108
.LBB5_105:                              ;   in Loop: Header=BB5_108 Depth=2
	s_wait_xcnt 0x0
	s_or_b32 exec_lo, exec_lo, s12
	s_delay_alu instid0(VALU_DEP_1)
	v_readfirstlane_b32 s12, v3
	s_cmp_eq_u32 s12, 0
	s_cbranch_scc1 .LBB5_107
; %bb.106:                              ;   in Loop: Header=BB5_108 Depth=2
	s_sleep 1
	s_cbranch_execnz .LBB5_108
	s_branch .LBB5_110
.LBB5_107:                              ;   in Loop: Header=BB5_39 Depth=1
	s_branch .LBB5_110
.LBB5_108:                              ;   Parent Loop BB5_39 Depth=1
                                        ; =>  This Inner Loop Header: Depth=2
	v_mov_b32_e32 v3, 1
	s_and_saveexec_b32 s12, s1
	s_cbranch_execz .LBB5_105
; %bb.109:                              ;   in Loop: Header=BB5_108 Depth=2
	global_load_b32 v3, v[34:35], off offset:20 scope:SCOPE_SYS
	s_wait_loadcnt 0x0
	global_inv scope:SCOPE_SYS
	v_and_b32_e32 v3, 1, v3
	s_branch .LBB5_105
.LBB5_110:                              ;   in Loop: Header=BB5_39 Depth=1
	global_load_b64 v[10:11], v[10:11], off
	s_wait_xcnt 0x0
	s_and_saveexec_b32 s12, s1
	s_cbranch_execz .LBB5_38
; %bb.111:                              ;   in Loop: Header=BB5_39 Depth=1
	s_clause 0x2
	global_load_b64 v[12:13], v15, s[2:3] offset:40
	global_load_b64 v[22:23], v15, s[2:3] offset:24 scope:SCOPE_SYS
	global_load_b64 v[18:19], v15, s[2:3]
	s_wait_loadcnt 0x2
	v_readfirstlane_b32 s14, v12
	v_readfirstlane_b32 s15, v13
	s_add_nc_u64 s[20:21], s[14:15], 1
	s_delay_alu instid0(SALU_CYCLE_1) | instskip(NEXT) | instid1(SALU_CYCLE_1)
	s_add_nc_u64 s[10:11], s[20:21], s[10:11]
	s_cmp_eq_u64 s[10:11], 0
	s_cselect_b32 s11, s21, s11
	s_cselect_b32 s10, s20, s10
	s_delay_alu instid0(SALU_CYCLE_1) | instskip(SKIP_1) | instid1(SALU_CYCLE_1)
	v_dual_mov_b32 v21, s11 :: v_dual_mov_b32 v20, s10
	s_and_b64 s[14:15], s[10:11], s[14:15]
	s_mul_u64 s[14:15], s[14:15], 24
	s_wait_loadcnt 0x0
	v_add_nc_u64_e32 v[12:13], s[14:15], v[18:19]
	global_store_b64 v[12:13], v[22:23], off
	global_wb scope:SCOPE_SYS
	s_wait_storecnt 0x0
	s_wait_xcnt 0x0
	global_atomic_cmpswap_b64 v[20:21], v15, v[20:23], s[2:3] offset:24 th:TH_ATOMIC_RETURN scope:SCOPE_SYS
	s_wait_loadcnt 0x0
	v_cmp_ne_u64_e32 vcc_lo, v[20:21], v[22:23]
	s_and_b32 exec_lo, exec_lo, vcc_lo
	s_cbranch_execz .LBB5_38
; %bb.112:                              ;   in Loop: Header=BB5_39 Depth=1
	s_mov_b32 s1, 0
.LBB5_113:                              ;   Parent Loop BB5_39 Depth=1
                                        ; =>  This Inner Loop Header: Depth=2
	v_dual_mov_b32 v18, s10 :: v_dual_mov_b32 v19, s11
	s_sleep 1
	global_store_b64 v[12:13], v[20:21], off
	global_wb scope:SCOPE_SYS
	s_wait_storecnt 0x0
	s_wait_xcnt 0x0
	global_atomic_cmpswap_b64 v[18:19], v15, v[18:21], s[2:3] offset:24 th:TH_ATOMIC_RETURN scope:SCOPE_SYS
	s_wait_loadcnt 0x0
	v_cmp_eq_u64_e32 vcc_lo, v[18:19], v[20:21]
	v_mov_b64_e32 v[20:21], v[18:19]
	s_or_b32 s1, vcc_lo, s1
	s_delay_alu instid0(SALU_CYCLE_1)
	s_and_not1_b32 exec_lo, exec_lo, s1
	s_cbranch_execnz .LBB5_113
	s_branch .LBB5_38
.LBB5_114:
	s_branch .LBB5_142
.LBB5_115:
                                        ; implicit-def: $vgpr10_vgpr11
	s_cbranch_execz .LBB5_142
; %bb.116:
	v_readfirstlane_b32 s1, v5
	v_mov_b64_e32 v[2:3], 0
	s_delay_alu instid0(VALU_DEP_2)
	v_cmp_eq_u32_e64 s1, s1, v5
	s_and_saveexec_b32 s4, s1
	s_cbranch_execz .LBB5_122
; %bb.117:
	v_mov_b32_e32 v7, 0
	s_mov_b32 s5, exec_lo
	global_load_b64 v[12:13], v7, s[2:3] offset:24 scope:SCOPE_SYS
	s_wait_loadcnt 0x0
	global_inv scope:SCOPE_SYS
	s_clause 0x1
	global_load_b64 v[2:3], v7, s[2:3] offset:40
	global_load_b64 v[10:11], v7, s[2:3]
	s_wait_loadcnt 0x1
	v_and_b32_e32 v2, v2, v12
	v_and_b32_e32 v3, v3, v13
	s_delay_alu instid0(VALU_DEP_1) | instskip(SKIP_1) | instid1(VALU_DEP_1)
	v_mul_u64_e32 v[2:3], 24, v[2:3]
	s_wait_loadcnt 0x0
	v_add_nc_u64_e32 v[2:3], v[10:11], v[2:3]
	global_load_b64 v[10:11], v[2:3], off scope:SCOPE_SYS
	s_wait_xcnt 0x0
	s_wait_loadcnt 0x0
	global_atomic_cmpswap_b64 v[2:3], v7, v[10:13], s[2:3] offset:24 th:TH_ATOMIC_RETURN scope:SCOPE_SYS
	s_wait_loadcnt 0x0
	global_inv scope:SCOPE_SYS
	s_wait_xcnt 0x0
	v_cmpx_ne_u64_e64 v[2:3], v[12:13]
	s_cbranch_execz .LBB5_121
; %bb.118:
	s_mov_b32 s6, 0
.LBB5_119:                              ; =>This Inner Loop Header: Depth=1
	s_sleep 1
	s_clause 0x1
	global_load_b64 v[10:11], v7, s[2:3] offset:40
	global_load_b64 v[14:15], v7, s[2:3]
	v_mov_b64_e32 v[12:13], v[2:3]
	s_wait_loadcnt 0x1
	s_delay_alu instid0(VALU_DEP_1) | instskip(NEXT) | instid1(VALU_DEP_2)
	v_and_b32_e32 v2, v10, v12
	v_and_b32_e32 v10, v11, v13
	s_wait_loadcnt 0x0
	s_delay_alu instid0(VALU_DEP_2) | instskip(NEXT) | instid1(VALU_DEP_1)
	v_mad_nc_u64_u32 v[2:3], v2, 24, v[14:15]
	v_mad_u32 v3, v10, 24, v3
	global_load_b64 v[10:11], v[2:3], off scope:SCOPE_SYS
	s_wait_xcnt 0x0
	s_wait_loadcnt 0x0
	global_atomic_cmpswap_b64 v[2:3], v7, v[10:13], s[2:3] offset:24 th:TH_ATOMIC_RETURN scope:SCOPE_SYS
	s_wait_loadcnt 0x0
	global_inv scope:SCOPE_SYS
	v_cmp_eq_u64_e32 vcc_lo, v[2:3], v[12:13]
	s_or_b32 s6, vcc_lo, s6
	s_wait_xcnt 0x0
	s_and_not1_b32 exec_lo, exec_lo, s6
	s_cbranch_execnz .LBB5_119
; %bb.120:
	s_or_b32 exec_lo, exec_lo, s6
.LBB5_121:
	s_delay_alu instid0(SALU_CYCLE_1)
	s_or_b32 exec_lo, exec_lo, s5
.LBB5_122:
	s_delay_alu instid0(SALU_CYCLE_1)
	s_or_b32 exec_lo, exec_lo, s4
	v_readfirstlane_b32 s4, v2
	v_mov_b32_e32 v7, 0
	v_readfirstlane_b32 s5, v3
	s_mov_b32 s6, exec_lo
	s_wait_loadcnt 0x0
	s_clause 0x1
	global_load_b64 v[10:11], v7, s[2:3] offset:40
	global_load_b128 v[12:15], v7, s[2:3]
	s_wait_loadcnt 0x1
	v_and_b32_e32 v10, s4, v10
	v_and_b32_e32 v11, s5, v11
	s_delay_alu instid0(VALU_DEP_1) | instskip(SKIP_1) | instid1(VALU_DEP_1)
	v_mul_u64_e32 v[2:3], 24, v[10:11]
	s_wait_loadcnt 0x0
	v_add_nc_u64_e32 v[2:3], v[12:13], v[2:3]
	s_wait_xcnt 0x0
	s_and_saveexec_b32 s7, s1
	s_cbranch_execz .LBB5_124
; %bb.123:
	v_mov_b64_e32 v[18:19], 0x100000002
	v_dual_mov_b32 v16, s6 :: v_dual_mov_b32 v17, v7
	global_store_b128 v[2:3], v[16:19], off offset:8
.LBB5_124:
	s_wait_xcnt 0x0
	s_or_b32 exec_lo, exec_lo, s7
	v_lshlrev_b64_e32 v[10:11], 12, v[10:11]
	s_mov_b32 s8, 0
	v_and_or_b32 v8, 0xffffff1f, v8, 32
	s_mov_b32 s10, s8
	s_mov_b32 s11, s8
	;; [unrolled: 1-line block ×3, first 2 shown]
	v_mov_b64_e32 v[18:19], s[10:11]
	v_add_nc_u64_e32 v[14:15], v[14:15], v[10:11]
	v_mov_b64_e32 v[16:17], s[8:9]
	v_dual_mov_b32 v10, v7 :: v_dual_mov_b32 v11, v7
	s_delay_alu instid0(VALU_DEP_3) | instskip(NEXT) | instid1(VALU_DEP_4)
	v_readfirstlane_b32 s6, v14
	v_readfirstlane_b32 s7, v15
	s_clause 0x3
	global_store_b128 v6, v[8:11], s[6:7]
	global_store_b128 v6, v[16:19], s[6:7] offset:16
	global_store_b128 v6, v[16:19], s[6:7] offset:32
	;; [unrolled: 1-line block ×3, first 2 shown]
	s_wait_xcnt 0x0
	s_and_saveexec_b32 s6, s1
	s_cbranch_execz .LBB5_131
; %bb.125:
	v_dual_mov_b32 v16, 0 :: v_dual_mov_b32 v19, s5
	s_mov_b32 s7, exec_lo
	s_clause 0x1
	global_load_b64 v[20:21], v16, s[2:3] offset:32 scope:SCOPE_SYS
	global_load_b64 v[8:9], v16, s[2:3] offset:40
	s_wait_loadcnt 0x0
	v_dual_mov_b32 v18, s4 :: v_dual_bitop2_b32 v9, s5, v9 bitop3:0x40
	v_and_b32_e32 v8, s4, v8
	s_delay_alu instid0(VALU_DEP_1) | instskip(NEXT) | instid1(VALU_DEP_1)
	v_mul_u64_e32 v[8:9], 24, v[8:9]
	v_add_nc_u64_e32 v[12:13], v[12:13], v[8:9]
	global_store_b64 v[12:13], v[20:21], off
	global_wb scope:SCOPE_SYS
	s_wait_storecnt 0x0
	s_wait_xcnt 0x0
	global_atomic_cmpswap_b64 v[10:11], v16, v[18:21], s[2:3] offset:32 th:TH_ATOMIC_RETURN scope:SCOPE_SYS
	s_wait_loadcnt 0x0
	v_cmpx_ne_u64_e64 v[10:11], v[20:21]
	s_cbranch_execz .LBB5_127
.LBB5_126:                              ; =>This Inner Loop Header: Depth=1
	v_dual_mov_b32 v8, s4 :: v_dual_mov_b32 v9, s5
	s_sleep 1
	global_store_b64 v[12:13], v[10:11], off
	global_wb scope:SCOPE_SYS
	s_wait_storecnt 0x0
	s_wait_xcnt 0x0
	global_atomic_cmpswap_b64 v[8:9], v16, v[8:11], s[2:3] offset:32 th:TH_ATOMIC_RETURN scope:SCOPE_SYS
	s_wait_loadcnt 0x0
	v_cmp_eq_u64_e32 vcc_lo, v[8:9], v[10:11]
	v_mov_b64_e32 v[10:11], v[8:9]
	s_or_b32 s8, vcc_lo, s8
	s_delay_alu instid0(SALU_CYCLE_1)
	s_and_not1_b32 exec_lo, exec_lo, s8
	s_cbranch_execnz .LBB5_126
.LBB5_127:
	s_or_b32 exec_lo, exec_lo, s7
	v_mov_b32_e32 v11, 0
	s_mov_b32 s8, exec_lo
	s_mov_b32 s7, exec_lo
	v_mbcnt_lo_u32_b32 v10, s8, 0
	global_load_b64 v[8:9], v11, s[2:3] offset:16
	s_wait_xcnt 0x0
	v_cmpx_eq_u32_e32 0, v10
	s_cbranch_execz .LBB5_129
; %bb.128:
	s_bcnt1_i32_b32 s8, s8
	s_delay_alu instid0(SALU_CYCLE_1)
	v_mov_b32_e32 v10, s8
	global_wb scope:SCOPE_SYS
	s_wait_loadcnt 0x0
	s_wait_storecnt 0x0
	global_atomic_add_u64 v[8:9], v[10:11], off offset:8 scope:SCOPE_SYS
.LBB5_129:
	s_wait_xcnt 0x0
	s_or_b32 exec_lo, exec_lo, s7
	s_wait_loadcnt 0x0
	global_load_b64 v[10:11], v[8:9], off offset:16
	s_wait_loadcnt 0x0
	v_cmp_eq_u64_e32 vcc_lo, 0, v[10:11]
	s_cbranch_vccnz .LBB5_131
; %bb.130:
	global_load_b32 v8, v[8:9], off offset:24
	s_wait_xcnt 0x0
	v_mov_b32_e32 v9, 0
	s_wait_loadcnt 0x0
	v_readfirstlane_b32 s7, v8
	global_wb scope:SCOPE_SYS
	s_wait_storecnt 0x0
	global_store_b64 v[10:11], v[8:9], off scope:SCOPE_SYS
	s_and_b32 m0, s7, 0xffffff
	s_sendmsg sendmsg(MSG_INTERRUPT)
.LBB5_131:
	s_wait_xcnt 0x0
	s_or_b32 exec_lo, exec_lo, s6
	v_add_nc_u64_e32 v[8:9], v[14:15], v[6:7]
	s_branch .LBB5_135
.LBB5_132:                              ;   in Loop: Header=BB5_135 Depth=1
	s_wait_xcnt 0x0
	s_or_b32 exec_lo, exec_lo, s6
	s_delay_alu instid0(VALU_DEP_1)
	v_readfirstlane_b32 s6, v7
	s_cmp_eq_u32 s6, 0
	s_cbranch_scc1 .LBB5_134
; %bb.133:                              ;   in Loop: Header=BB5_135 Depth=1
	s_sleep 1
	s_cbranch_execnz .LBB5_135
	s_branch .LBB5_137
.LBB5_134:
	s_branch .LBB5_137
.LBB5_135:                              ; =>This Inner Loop Header: Depth=1
	v_mov_b32_e32 v7, 1
	s_and_saveexec_b32 s6, s1
	s_cbranch_execz .LBB5_132
; %bb.136:                              ;   in Loop: Header=BB5_135 Depth=1
	global_load_b32 v7, v[2:3], off offset:20 scope:SCOPE_SYS
	s_wait_loadcnt 0x0
	global_inv scope:SCOPE_SYS
	v_and_b32_e32 v7, 1, v7
	s_branch .LBB5_132
.LBB5_137:
	global_load_b64 v[10:11], v[8:9], off
	s_wait_xcnt 0x0
	s_and_saveexec_b32 s6, s1
	s_cbranch_execz .LBB5_141
; %bb.138:
	v_mov_b32_e32 v7, 0
	s_clause 0x2
	global_load_b64 v[2:3], v7, s[2:3] offset:40
	global_load_b64 v[16:17], v7, s[2:3] offset:24 scope:SCOPE_SYS
	global_load_b64 v[8:9], v7, s[2:3]
	s_wait_loadcnt 0x2
	v_readfirstlane_b32 s8, v2
	v_readfirstlane_b32 s9, v3
	s_add_nc_u64 s[10:11], s[8:9], 1
	s_delay_alu instid0(SALU_CYCLE_1) | instskip(NEXT) | instid1(SALU_CYCLE_1)
	s_add_nc_u64 s[4:5], s[10:11], s[4:5]
	s_cmp_eq_u64 s[4:5], 0
	s_cselect_b32 s5, s11, s5
	s_cselect_b32 s4, s10, s4
	v_mov_b32_e32 v15, s5
	s_and_b64 s[8:9], s[4:5], s[8:9]
	v_mov_b32_e32 v14, s4
	s_mul_u64 s[8:9], s[8:9], 24
	s_wait_loadcnt 0x0
	v_add_nc_u64_e32 v[2:3], s[8:9], v[8:9]
	global_store_b64 v[2:3], v[16:17], off
	global_wb scope:SCOPE_SYS
	s_wait_storecnt 0x0
	s_wait_xcnt 0x0
	global_atomic_cmpswap_b64 v[14:15], v7, v[14:17], s[2:3] offset:24 th:TH_ATOMIC_RETURN scope:SCOPE_SYS
	s_wait_loadcnt 0x0
	v_cmp_ne_u64_e32 vcc_lo, v[14:15], v[16:17]
	s_and_b32 exec_lo, exec_lo, vcc_lo
	s_cbranch_execz .LBB5_141
; %bb.139:
	s_mov_b32 s1, 0
.LBB5_140:                              ; =>This Inner Loop Header: Depth=1
	v_dual_mov_b32 v12, s4 :: v_dual_mov_b32 v13, s5
	s_sleep 1
	global_store_b64 v[2:3], v[14:15], off
	global_wb scope:SCOPE_SYS
	s_wait_storecnt 0x0
	s_wait_xcnt 0x0
	global_atomic_cmpswap_b64 v[8:9], v7, v[12:15], s[2:3] offset:24 th:TH_ATOMIC_RETURN scope:SCOPE_SYS
	s_wait_loadcnt 0x0
	v_cmp_eq_u64_e32 vcc_lo, v[8:9], v[14:15]
	v_mov_b64_e32 v[14:15], v[8:9]
	s_or_b32 s1, vcc_lo, s1
	s_delay_alu instid0(SALU_CYCLE_1)
	s_and_not1_b32 exec_lo, exec_lo, s1
	s_cbranch_execnz .LBB5_140
.LBB5_141:
	s_or_b32 exec_lo, exec_lo, s6
.LBB5_142:
	v_readfirstlane_b32 s1, v5
	v_mov_b64_e32 v[2:3], 0
	s_delay_alu instid0(VALU_DEP_2)
	v_cmp_eq_u32_e64 s1, s1, v5
	s_and_saveexec_b32 s4, s1
	s_cbranch_execz .LBB5_148
; %bb.143:
	v_mov_b32_e32 v7, 0
	s_mov_b32 s5, exec_lo
	global_load_b64 v[14:15], v7, s[2:3] offset:24 scope:SCOPE_SYS
	s_wait_loadcnt 0x0
	global_inv scope:SCOPE_SYS
	s_clause 0x1
	global_load_b64 v[2:3], v7, s[2:3] offset:40
	global_load_b64 v[8:9], v7, s[2:3]
	s_wait_loadcnt 0x1
	v_and_b32_e32 v2, v2, v14
	v_and_b32_e32 v3, v3, v15
	s_delay_alu instid0(VALU_DEP_1) | instskip(SKIP_1) | instid1(VALU_DEP_1)
	v_mul_u64_e32 v[2:3], 24, v[2:3]
	s_wait_loadcnt 0x0
	v_add_nc_u64_e32 v[2:3], v[8:9], v[2:3]
	global_load_b64 v[12:13], v[2:3], off scope:SCOPE_SYS
	s_wait_xcnt 0x0
	s_wait_loadcnt 0x0
	global_atomic_cmpswap_b64 v[2:3], v7, v[12:15], s[2:3] offset:24 th:TH_ATOMIC_RETURN scope:SCOPE_SYS
	s_wait_loadcnt 0x0
	global_inv scope:SCOPE_SYS
	s_wait_xcnt 0x0
	v_cmpx_ne_u64_e64 v[2:3], v[14:15]
	s_cbranch_execz .LBB5_147
; %bb.144:
	s_mov_b32 s6, 0
.LBB5_145:                              ; =>This Inner Loop Header: Depth=1
	s_sleep 1
	s_clause 0x1
	global_load_b64 v[8:9], v7, s[2:3] offset:40
	global_load_b64 v[12:13], v7, s[2:3]
	v_mov_b64_e32 v[14:15], v[2:3]
	s_wait_loadcnt 0x1
	s_delay_alu instid0(VALU_DEP_1) | instskip(NEXT) | instid1(VALU_DEP_2)
	v_and_b32_e32 v2, v8, v14
	v_and_b32_e32 v8, v9, v15
	s_wait_loadcnt 0x0
	s_delay_alu instid0(VALU_DEP_2) | instskip(NEXT) | instid1(VALU_DEP_1)
	v_mad_nc_u64_u32 v[2:3], v2, 24, v[12:13]
	v_mad_u32 v3, v8, 24, v3
	global_load_b64 v[12:13], v[2:3], off scope:SCOPE_SYS
	s_wait_xcnt 0x0
	s_wait_loadcnt 0x0
	global_atomic_cmpswap_b64 v[2:3], v7, v[12:15], s[2:3] offset:24 th:TH_ATOMIC_RETURN scope:SCOPE_SYS
	s_wait_loadcnt 0x0
	global_inv scope:SCOPE_SYS
	v_cmp_eq_u64_e32 vcc_lo, v[2:3], v[14:15]
	s_or_b32 s6, vcc_lo, s6
	s_wait_xcnt 0x0
	s_and_not1_b32 exec_lo, exec_lo, s6
	s_cbranch_execnz .LBB5_145
; %bb.146:
	s_or_b32 exec_lo, exec_lo, s6
.LBB5_147:
	s_delay_alu instid0(SALU_CYCLE_1)
	s_or_b32 exec_lo, exec_lo, s5
.LBB5_148:
	s_delay_alu instid0(SALU_CYCLE_1)
	s_or_b32 exec_lo, exec_lo, s4
	v_readfirstlane_b32 s4, v2
	v_mov_b32_e32 v7, 0
	v_readfirstlane_b32 s5, v3
	s_mov_b32 s6, exec_lo
	s_wait_loadcnt 0x0
	s_clause 0x1
	global_load_b64 v[8:9], v7, s[2:3] offset:40
	global_load_b128 v[14:17], v7, s[2:3]
	s_wait_loadcnt 0x1
	v_and_b32_e32 v8, s4, v8
	v_and_b32_e32 v9, s5, v9
	s_delay_alu instid0(VALU_DEP_1) | instskip(SKIP_1) | instid1(VALU_DEP_1)
	v_mul_u64_e32 v[2:3], 24, v[8:9]
	s_wait_loadcnt 0x0
	v_add_nc_u64_e32 v[2:3], v[14:15], v[2:3]
	s_wait_xcnt 0x0
	s_and_saveexec_b32 s7, s1
	s_cbranch_execz .LBB5_150
; %bb.149:
	v_mov_b64_e32 v[20:21], 0x100000002
	v_dual_mov_b32 v18, s6 :: v_dual_mov_b32 v19, v7
	global_store_b128 v[2:3], v[18:21], off offset:8
.LBB5_150:
	s_wait_xcnt 0x0
	s_or_b32 exec_lo, exec_lo, s7
	v_lshlrev_b64_e32 v[8:9], 12, v[8:9]
	s_mov_b32 s8, 0
	v_and_or_b32 v10, 0xffffff1f, v10, 32
	s_mov_b32 s10, s8
	s_mov_b32 s11, s8
	;; [unrolled: 1-line block ×3, first 2 shown]
	v_mov_b64_e32 v[20:21], s[10:11]
	v_add_nc_u64_e32 v[16:17], v[16:17], v[8:9]
	v_mov_b64_e32 v[18:19], s[8:9]
	v_dual_mov_b32 v12, v39 :: v_dual_mov_b32 v13, v7
	s_delay_alu instid0(VALU_DEP_3) | instskip(NEXT) | instid1(VALU_DEP_4)
	v_readfirstlane_b32 s6, v16
	v_readfirstlane_b32 s7, v17
	s_clause 0x3
	global_store_b128 v6, v[10:13], s[6:7]
	global_store_b128 v6, v[18:21], s[6:7] offset:16
	global_store_b128 v6, v[18:21], s[6:7] offset:32
	;; [unrolled: 1-line block ×3, first 2 shown]
	s_wait_xcnt 0x0
	s_and_saveexec_b32 s6, s1
	s_cbranch_execz .LBB5_157
; %bb.151:
	v_dual_mov_b32 v18, 0 :: v_dual_mov_b32 v21, s5
	s_mov_b32 s7, exec_lo
	s_clause 0x1
	global_load_b64 v[22:23], v18, s[2:3] offset:32 scope:SCOPE_SYS
	global_load_b64 v[8:9], v18, s[2:3] offset:40
	s_wait_loadcnt 0x0
	v_dual_mov_b32 v20, s4 :: v_dual_bitop2_b32 v9, s5, v9 bitop3:0x40
	v_and_b32_e32 v8, s4, v8
	s_delay_alu instid0(VALU_DEP_1) | instskip(NEXT) | instid1(VALU_DEP_1)
	v_mul_u64_e32 v[8:9], 24, v[8:9]
	v_add_nc_u64_e32 v[12:13], v[14:15], v[8:9]
	global_store_b64 v[12:13], v[22:23], off
	global_wb scope:SCOPE_SYS
	s_wait_storecnt 0x0
	s_wait_xcnt 0x0
	global_atomic_cmpswap_b64 v[10:11], v18, v[20:23], s[2:3] offset:32 th:TH_ATOMIC_RETURN scope:SCOPE_SYS
	s_wait_loadcnt 0x0
	v_cmpx_ne_u64_e64 v[10:11], v[22:23]
	s_cbranch_execz .LBB5_153
.LBB5_152:                              ; =>This Inner Loop Header: Depth=1
	v_dual_mov_b32 v8, s4 :: v_dual_mov_b32 v9, s5
	s_sleep 1
	global_store_b64 v[12:13], v[10:11], off
	global_wb scope:SCOPE_SYS
	s_wait_storecnt 0x0
	s_wait_xcnt 0x0
	global_atomic_cmpswap_b64 v[8:9], v18, v[8:11], s[2:3] offset:32 th:TH_ATOMIC_RETURN scope:SCOPE_SYS
	s_wait_loadcnt 0x0
	v_cmp_eq_u64_e32 vcc_lo, v[8:9], v[10:11]
	v_mov_b64_e32 v[10:11], v[8:9]
	s_or_b32 s8, vcc_lo, s8
	s_delay_alu instid0(SALU_CYCLE_1)
	s_and_not1_b32 exec_lo, exec_lo, s8
	s_cbranch_execnz .LBB5_152
.LBB5_153:
	s_or_b32 exec_lo, exec_lo, s7
	v_mov_b32_e32 v11, 0
	s_mov_b32 s8, exec_lo
	s_mov_b32 s7, exec_lo
	v_mbcnt_lo_u32_b32 v10, s8, 0
	global_load_b64 v[8:9], v11, s[2:3] offset:16
	s_wait_xcnt 0x0
	v_cmpx_eq_u32_e32 0, v10
	s_cbranch_execz .LBB5_155
; %bb.154:
	s_bcnt1_i32_b32 s8, s8
	s_delay_alu instid0(SALU_CYCLE_1)
	v_mov_b32_e32 v10, s8
	global_wb scope:SCOPE_SYS
	s_wait_loadcnt 0x0
	s_wait_storecnt 0x0
	global_atomic_add_u64 v[8:9], v[10:11], off offset:8 scope:SCOPE_SYS
.LBB5_155:
	s_wait_xcnt 0x0
	s_or_b32 exec_lo, exec_lo, s7
	s_wait_loadcnt 0x0
	global_load_b64 v[10:11], v[8:9], off offset:16
	s_wait_loadcnt 0x0
	v_cmp_eq_u64_e32 vcc_lo, 0, v[10:11]
	s_cbranch_vccnz .LBB5_157
; %bb.156:
	global_load_b32 v8, v[8:9], off offset:24
	s_wait_xcnt 0x0
	v_mov_b32_e32 v9, 0
	s_wait_loadcnt 0x0
	v_readfirstlane_b32 s7, v8
	global_wb scope:SCOPE_SYS
	s_wait_storecnt 0x0
	global_store_b64 v[10:11], v[8:9], off scope:SCOPE_SYS
	s_and_b32 m0, s7, 0xffffff
	s_sendmsg sendmsg(MSG_INTERRUPT)
.LBB5_157:
	s_wait_xcnt 0x0
	s_or_b32 exec_lo, exec_lo, s6
	v_add_nc_u64_e32 v[8:9], v[16:17], v[6:7]
	s_branch .LBB5_161
.LBB5_158:                              ;   in Loop: Header=BB5_161 Depth=1
	s_wait_xcnt 0x0
	s_or_b32 exec_lo, exec_lo, s6
	s_delay_alu instid0(VALU_DEP_1)
	v_readfirstlane_b32 s6, v7
	s_cmp_eq_u32 s6, 0
	s_cbranch_scc1 .LBB5_160
; %bb.159:                              ;   in Loop: Header=BB5_161 Depth=1
	s_sleep 1
	s_cbranch_execnz .LBB5_161
	s_branch .LBB5_163
.LBB5_160:
	s_branch .LBB5_163
.LBB5_161:                              ; =>This Inner Loop Header: Depth=1
	v_mov_b32_e32 v7, 1
	s_and_saveexec_b32 s6, s1
	s_cbranch_execz .LBB5_158
; %bb.162:                              ;   in Loop: Header=BB5_161 Depth=1
	global_load_b32 v7, v[2:3], off offset:20 scope:SCOPE_SYS
	s_wait_loadcnt 0x0
	global_inv scope:SCOPE_SYS
	v_and_b32_e32 v7, 1, v7
	s_branch .LBB5_158
.LBB5_163:
	global_load_b64 v[2:3], v[8:9], off
	s_wait_xcnt 0x0
	s_and_saveexec_b32 s6, s1
	s_cbranch_execz .LBB5_167
; %bb.164:
	v_mov_b32_e32 v7, 0
	s_clause 0x2
	global_load_b64 v[8:9], v7, s[2:3] offset:40
	global_load_b64 v[16:17], v7, s[2:3] offset:24 scope:SCOPE_SYS
	global_load_b64 v[10:11], v7, s[2:3]
	s_wait_loadcnt 0x2
	v_readfirstlane_b32 s8, v8
	v_readfirstlane_b32 s9, v9
	s_add_nc_u64 s[10:11], s[8:9], 1
	s_delay_alu instid0(SALU_CYCLE_1) | instskip(NEXT) | instid1(SALU_CYCLE_1)
	s_add_nc_u64 s[4:5], s[10:11], s[4:5]
	s_cmp_eq_u64 s[4:5], 0
	s_cselect_b32 s5, s11, s5
	s_cselect_b32 s4, s10, s4
	v_mov_b32_e32 v15, s5
	s_and_b64 s[8:9], s[4:5], s[8:9]
	v_mov_b32_e32 v14, s4
	s_mul_u64 s[8:9], s[8:9], 24
	s_wait_loadcnt 0x0
	v_add_nc_u64_e32 v[12:13], s[8:9], v[10:11]
	global_store_b64 v[12:13], v[16:17], off
	global_wb scope:SCOPE_SYS
	s_wait_storecnt 0x0
	s_wait_xcnt 0x0
	global_atomic_cmpswap_b64 v[10:11], v7, v[14:17], s[2:3] offset:24 th:TH_ATOMIC_RETURN scope:SCOPE_SYS
	s_wait_loadcnt 0x0
	v_cmp_ne_u64_e32 vcc_lo, v[10:11], v[16:17]
	s_and_b32 exec_lo, exec_lo, vcc_lo
	s_cbranch_execz .LBB5_167
; %bb.165:
	s_mov_b32 s1, 0
.LBB5_166:                              ; =>This Inner Loop Header: Depth=1
	v_dual_mov_b32 v8, s4 :: v_dual_mov_b32 v9, s5
	s_sleep 1
	global_store_b64 v[12:13], v[10:11], off
	global_wb scope:SCOPE_SYS
	s_wait_storecnt 0x0
	s_wait_xcnt 0x0
	global_atomic_cmpswap_b64 v[8:9], v7, v[8:11], s[2:3] offset:24 th:TH_ATOMIC_RETURN scope:SCOPE_SYS
	s_wait_loadcnt 0x0
	v_cmp_eq_u64_e32 vcc_lo, v[8:9], v[10:11]
	v_mov_b64_e32 v[10:11], v[8:9]
	s_or_b32 s1, vcc_lo, s1
	s_delay_alu instid0(SALU_CYCLE_1)
	s_and_not1_b32 exec_lo, exec_lo, s1
	s_cbranch_execnz .LBB5_166
.LBB5_167:
	s_or_b32 exec_lo, exec_lo, s6
	v_readfirstlane_b32 s1, v5
	v_mov_b64_e32 v[12:13], 0
	s_delay_alu instid0(VALU_DEP_2)
	v_cmp_eq_u32_e64 s1, s1, v5
	s_and_saveexec_b32 s4, s1
	s_cbranch_execz .LBB5_173
; %bb.168:
	v_mov_b32_e32 v5, 0
	s_mov_b32 s5, exec_lo
	global_load_b64 v[10:11], v5, s[2:3] offset:24 scope:SCOPE_SYS
	s_wait_loadcnt 0x0
	global_inv scope:SCOPE_SYS
	s_clause 0x1
	global_load_b64 v[8:9], v5, s[2:3] offset:40
	global_load_b64 v[12:13], v5, s[2:3]
	s_wait_loadcnt 0x1
	v_and_b32_e32 v8, v8, v10
	v_and_b32_e32 v9, v9, v11
	s_delay_alu instid0(VALU_DEP_1) | instskip(SKIP_1) | instid1(VALU_DEP_1)
	v_mul_u64_e32 v[8:9], 24, v[8:9]
	s_wait_loadcnt 0x0
	v_add_nc_u64_e32 v[8:9], v[12:13], v[8:9]
	global_load_b64 v[8:9], v[8:9], off scope:SCOPE_SYS
	s_wait_xcnt 0x0
	s_wait_loadcnt 0x0
	global_atomic_cmpswap_b64 v[12:13], v5, v[8:11], s[2:3] offset:24 th:TH_ATOMIC_RETURN scope:SCOPE_SYS
	s_wait_loadcnt 0x0
	global_inv scope:SCOPE_SYS
	s_wait_xcnt 0x0
	v_cmpx_ne_u64_e64 v[12:13], v[10:11]
	s_cbranch_execz .LBB5_172
; %bb.169:
	s_mov_b32 s6, 0
.LBB5_170:                              ; =>This Inner Loop Header: Depth=1
	s_sleep 1
	s_clause 0x1
	global_load_b64 v[8:9], v5, s[2:3] offset:40
	global_load_b64 v[14:15], v5, s[2:3]
	v_mov_b64_e32 v[10:11], v[12:13]
	s_wait_loadcnt 0x1
	s_delay_alu instid0(VALU_DEP_1) | instskip(SKIP_1) | instid1(VALU_DEP_1)
	v_and_b32_e32 v7, v8, v10
	s_wait_loadcnt 0x0
	v_mad_nc_u64_u32 v[12:13], v7, 24, v[14:15]
	s_delay_alu instid0(VALU_DEP_3) | instskip(NEXT) | instid1(VALU_DEP_1)
	v_and_b32_e32 v7, v9, v11
	v_mad_u32 v13, v7, 24, v13
	global_load_b64 v[8:9], v[12:13], off scope:SCOPE_SYS
	s_wait_xcnt 0x0
	s_wait_loadcnt 0x0
	global_atomic_cmpswap_b64 v[12:13], v5, v[8:11], s[2:3] offset:24 th:TH_ATOMIC_RETURN scope:SCOPE_SYS
	s_wait_loadcnt 0x0
	global_inv scope:SCOPE_SYS
	v_cmp_eq_u64_e32 vcc_lo, v[12:13], v[10:11]
	s_or_b32 s6, vcc_lo, s6
	s_wait_xcnt 0x0
	s_and_not1_b32 exec_lo, exec_lo, s6
	s_cbranch_execnz .LBB5_170
; %bb.171:
	s_or_b32 exec_lo, exec_lo, s6
.LBB5_172:
	s_delay_alu instid0(SALU_CYCLE_1)
	s_or_b32 exec_lo, exec_lo, s5
.LBB5_173:
	s_delay_alu instid0(SALU_CYCLE_1)
	s_or_b32 exec_lo, exec_lo, s4
	v_readfirstlane_b32 s4, v12
	v_mov_b32_e32 v5, 0
	v_readfirstlane_b32 s5, v13
	s_mov_b32 s6, exec_lo
	s_clause 0x1
	global_load_b64 v[14:15], v5, s[2:3] offset:40
	global_load_b128 v[8:11], v5, s[2:3]
	s_wait_loadcnt 0x1
	v_and_b32_e32 v14, s4, v14
	v_and_b32_e32 v15, s5, v15
	s_delay_alu instid0(VALU_DEP_1) | instskip(SKIP_1) | instid1(VALU_DEP_1)
	v_mul_u64_e32 v[12:13], 24, v[14:15]
	s_wait_loadcnt 0x0
	v_add_nc_u64_e32 v[12:13], v[8:9], v[12:13]
	s_wait_xcnt 0x0
	s_and_saveexec_b32 s7, s1
	s_cbranch_execz .LBB5_175
; %bb.174:
	v_mov_b64_e32 v[18:19], 0x100000002
	v_dual_mov_b32 v16, s6 :: v_dual_mov_b32 v17, v5
	global_store_b128 v[12:13], v[16:19], off offset:8
.LBB5_175:
	s_wait_xcnt 0x0
	s_or_b32 exec_lo, exec_lo, s7
	v_lshlrev_b64_e32 v[14:15], 12, v[14:15]
	s_mov_b32 s8, 0
	v_and_or_b32 v2, 0xffffff1d, v2, 34
	s_mov_b32 s10, s8
	s_mov_b32 s11, s8
	;; [unrolled: 1-line block ×3, first 2 shown]
	s_delay_alu instid0(VALU_DEP_2) | instskip(SKIP_2) | instid1(VALU_DEP_3)
	v_add_nc_u64_e32 v[10:11], v[10:11], v[14:15]
	v_mov_b64_e32 v[16:17], s[10:11]
	v_mov_b64_e32 v[14:15], s[8:9]
	v_readfirstlane_b32 s6, v10
	s_delay_alu instid0(VALU_DEP_4)
	v_readfirstlane_b32 s7, v11
	s_clause 0x3
	global_store_b128 v6, v[2:5], s[6:7]
	global_store_b128 v6, v[14:17], s[6:7] offset:16
	global_store_b128 v6, v[14:17], s[6:7] offset:32
	;; [unrolled: 1-line block ×3, first 2 shown]
	s_wait_xcnt 0x0
	s_and_saveexec_b32 s6, s1
	s_cbranch_execz .LBB5_182
; %bb.176:
	v_dual_mov_b32 v10, 0 :: v_dual_mov_b32 v15, s5
	s_mov_b32 s7, exec_lo
	s_clause 0x1
	global_load_b64 v[16:17], v10, s[2:3] offset:32 scope:SCOPE_SYS
	global_load_b64 v[2:3], v10, s[2:3] offset:40
	s_wait_loadcnt 0x0
	v_dual_mov_b32 v14, s4 :: v_dual_bitop2_b32 v3, s5, v3 bitop3:0x40
	v_and_b32_e32 v2, s4, v2
	s_delay_alu instid0(VALU_DEP_1) | instskip(NEXT) | instid1(VALU_DEP_1)
	v_mul_u64_e32 v[2:3], 24, v[2:3]
	v_add_nc_u64_e32 v[6:7], v[8:9], v[2:3]
	global_store_b64 v[6:7], v[16:17], off
	global_wb scope:SCOPE_SYS
	s_wait_storecnt 0x0
	s_wait_xcnt 0x0
	global_atomic_cmpswap_b64 v[4:5], v10, v[14:17], s[2:3] offset:32 th:TH_ATOMIC_RETURN scope:SCOPE_SYS
	s_wait_loadcnt 0x0
	v_cmpx_ne_u64_e64 v[4:5], v[16:17]
	s_cbranch_execz .LBB5_178
.LBB5_177:                              ; =>This Inner Loop Header: Depth=1
	v_dual_mov_b32 v2, s4 :: v_dual_mov_b32 v3, s5
	s_sleep 1
	global_store_b64 v[6:7], v[4:5], off
	global_wb scope:SCOPE_SYS
	s_wait_storecnt 0x0
	s_wait_xcnt 0x0
	global_atomic_cmpswap_b64 v[2:3], v10, v[2:5], s[2:3] offset:32 th:TH_ATOMIC_RETURN scope:SCOPE_SYS
	s_wait_loadcnt 0x0
	v_cmp_eq_u64_e32 vcc_lo, v[2:3], v[4:5]
	v_mov_b64_e32 v[4:5], v[2:3]
	s_or_b32 s8, vcc_lo, s8
	s_delay_alu instid0(SALU_CYCLE_1)
	s_and_not1_b32 exec_lo, exec_lo, s8
	s_cbranch_execnz .LBB5_177
.LBB5_178:
	s_or_b32 exec_lo, exec_lo, s7
	v_mov_b32_e32 v5, 0
	s_mov_b32 s8, exec_lo
	s_mov_b32 s7, exec_lo
	v_mbcnt_lo_u32_b32 v4, s8, 0
	global_load_b64 v[2:3], v5, s[2:3] offset:16
	s_wait_xcnt 0x0
	v_cmpx_eq_u32_e32 0, v4
	s_cbranch_execz .LBB5_180
; %bb.179:
	s_bcnt1_i32_b32 s8, s8
	s_delay_alu instid0(SALU_CYCLE_1)
	v_mov_b32_e32 v4, s8
	global_wb scope:SCOPE_SYS
	s_wait_loadcnt 0x0
	s_wait_storecnt 0x0
	global_atomic_add_u64 v[2:3], v[4:5], off offset:8 scope:SCOPE_SYS
.LBB5_180:
	s_wait_xcnt 0x0
	s_or_b32 exec_lo, exec_lo, s7
	s_wait_loadcnt 0x0
	global_load_b64 v[4:5], v[2:3], off offset:16
	s_wait_loadcnt 0x0
	v_cmp_eq_u64_e32 vcc_lo, 0, v[4:5]
	s_cbranch_vccnz .LBB5_182
; %bb.181:
	global_load_b32 v2, v[2:3], off offset:24
	s_wait_xcnt 0x0
	v_mov_b32_e32 v3, 0
	s_wait_loadcnt 0x0
	v_readfirstlane_b32 s7, v2
	global_wb scope:SCOPE_SYS
	s_wait_storecnt 0x0
	global_store_b64 v[4:5], v[2:3], off scope:SCOPE_SYS
	s_and_b32 m0, s7, 0xffffff
	s_sendmsg sendmsg(MSG_INTERRUPT)
.LBB5_182:
	s_wait_xcnt 0x0
	s_or_b32 exec_lo, exec_lo, s6
	s_branch .LBB5_186
.LBB5_183:                              ;   in Loop: Header=BB5_186 Depth=1
	s_wait_xcnt 0x0
	s_or_b32 exec_lo, exec_lo, s6
	s_delay_alu instid0(VALU_DEP_1)
	v_readfirstlane_b32 s6, v2
	s_cmp_eq_u32 s6, 0
	s_cbranch_scc1 .LBB5_185
; %bb.184:                              ;   in Loop: Header=BB5_186 Depth=1
	s_sleep 1
	s_cbranch_execnz .LBB5_186
	s_branch .LBB5_188
.LBB5_185:
	s_branch .LBB5_188
.LBB5_186:                              ; =>This Inner Loop Header: Depth=1
	v_mov_b32_e32 v2, 1
	s_and_saveexec_b32 s6, s1
	s_cbranch_execz .LBB5_183
; %bb.187:                              ;   in Loop: Header=BB5_186 Depth=1
	global_load_b32 v2, v[12:13], off offset:20 scope:SCOPE_SYS
	s_wait_loadcnt 0x0
	global_inv scope:SCOPE_SYS
	v_and_b32_e32 v2, 1, v2
	s_branch .LBB5_183
.LBB5_188:
	s_and_b32 exec_lo, exec_lo, s1
	s_cbranch_execz .LBB5_192
; %bb.189:
	v_mov_b32_e32 v8, 0
	s_clause 0x2
	global_load_b64 v[2:3], v8, s[2:3] offset:40
	global_load_b64 v[12:13], v8, s[2:3] offset:24 scope:SCOPE_SYS
	global_load_b64 v[4:5], v8, s[2:3]
	s_wait_loadcnt 0x2
	v_readfirstlane_b32 s6, v2
	v_readfirstlane_b32 s7, v3
	s_add_nc_u64 s[8:9], s[6:7], 1
	s_delay_alu instid0(SALU_CYCLE_1) | instskip(NEXT) | instid1(SALU_CYCLE_1)
	s_add_nc_u64 s[4:5], s[8:9], s[4:5]
	s_cmp_eq_u64 s[4:5], 0
	s_cselect_b32 s5, s9, s5
	s_cselect_b32 s4, s8, s4
	v_mov_b32_e32 v11, s5
	s_and_b64 s[6:7], s[4:5], s[6:7]
	v_mov_b32_e32 v10, s4
	s_mul_u64 s[6:7], s[6:7], 24
	s_wait_loadcnt 0x0
	v_add_nc_u64_e32 v[6:7], s[6:7], v[4:5]
	global_store_b64 v[6:7], v[12:13], off
	global_wb scope:SCOPE_SYS
	s_wait_storecnt 0x0
	s_wait_xcnt 0x0
	global_atomic_cmpswap_b64 v[4:5], v8, v[10:13], s[2:3] offset:24 th:TH_ATOMIC_RETURN scope:SCOPE_SYS
	s_wait_loadcnt 0x0
	v_cmp_ne_u64_e32 vcc_lo, v[4:5], v[12:13]
	s_and_b32 exec_lo, exec_lo, vcc_lo
	s_cbranch_execz .LBB5_192
; %bb.190:
	s_mov_b32 s1, 0
.LBB5_191:                              ; =>This Inner Loop Header: Depth=1
	v_dual_mov_b32 v2, s4 :: v_dual_mov_b32 v3, s5
	s_sleep 1
	global_store_b64 v[6:7], v[4:5], off
	global_wb scope:SCOPE_SYS
	s_wait_storecnt 0x0
	s_wait_xcnt 0x0
	global_atomic_cmpswap_b64 v[2:3], v8, v[2:5], s[2:3] offset:24 th:TH_ATOMIC_RETURN scope:SCOPE_SYS
	s_wait_loadcnt 0x0
	v_cmp_eq_u64_e32 vcc_lo, v[2:3], v[4:5]
	v_mov_b64_e32 v[4:5], v[2:3]
	s_or_b32 s1, vcc_lo, s1
	s_delay_alu instid0(SALU_CYCLE_1)
	s_and_not1_b32 exec_lo, exec_lo, s1
	s_cbranch_execnz .LBB5_191
.LBB5_192:
	s_or_b32 exec_lo, exec_lo, s16
	v_or_b32_e32 v0, v0, v44
	s_xor_b32 s0, s0, -1
                                        ; implicit-def: $vgpr55
	s_delay_alu instid0(VALU_DEP_1) | instskip(SKIP_1) | instid1(SALU_CYCLE_1)
	v_cmp_lt_i32_e32 vcc_lo, -1, v0
	s_and_b32 s0, vcc_lo, s0
	s_and_saveexec_b32 s1, s0
	s_delay_alu instid0(SALU_CYCLE_1)
	s_xor_b32 s0, exec_lo, s1
	s_cbranch_execz .LBB5_194
; %bb.193:
	flat_load_b32 v2, v[40:41]
	v_lshl_or_b32 v0, v38, 1, 1
	s_wait_loadcnt_dscnt 0x0
	v_dual_ashrrev_i32 v3, 31, v2 :: v_dual_add_nc_u32 v6, 1, v2
	v_lshl_or_b32 v55, v2, 1, 1
	s_delay_alu instid0(VALU_DEP_2)
	v_lshl_add_u64 v[4:5], v[2:3], 3, v[40:41]
	s_clause 0x1
	flat_store_b32 v[40:41], v6
	flat_store_b64 v[4:5], v[0:1] offset:8
.LBB5_194:
	s_wait_xcnt 0x0
	s_or_saveexec_b32 s19, s0
	s_mov_b32 s0, s17
	s_xor_b32 exec_lo, exec_lo, s19
	s_cbranch_execz .LBB5_196
; %bb.195:
	s_get_pc_i64 s[0:1]
	s_add_nc_u64 s[0:1], s[0:1], .str.46@rel64+4
	s_get_pc_i64 s[2:3]
	s_add_nc_u64 s[2:3], s[2:3], .str.44@rel64+4
	s_get_pc_i64 s[4:5]
	s_add_nc_u64 s[4:5], s[4:5], __PRETTY_FUNCTION__._ZN8subgUtil18formAndNodeKeyFlagEiii@rel64+4
	v_dual_mov_b32 v0, s0 :: v_dual_mov_b32 v1, s1
	v_dual_mov_b32 v2, s2 :: v_dual_mov_b32 v3, s3
	;; [unrolled: 1-line block ×3, first 2 shown]
	v_mov_b32_e32 v6, s5
	s_get_pc_i64 s[6:7]
	s_add_nc_u64 s[6:7], s[6:7], __assert_fail@rel64+4
	s_mov_b64 s[8:9], s[34:35]
	s_swap_pc_i64 s[30:31], s[6:7]
	s_or_b32 s0, s17, exec_lo
.LBB5_196:
	s_or_b32 exec_lo, exec_lo, s19
	s_delay_alu instid0(SALU_CYCLE_1) | instskip(SKIP_1) | instid1(SALU_CYCLE_1)
	s_and_not1_b32 s1, s17, exec_lo
	s_and_b32 s0, s0, exec_lo
	s_or_b32 s17, s1, s0
	s_or_b32 exec_lo, exec_lo, s18
	s_and_saveexec_b32 s0, s17
	s_cbranch_execnz .LBB5_4
	s_branch .LBB5_5
.Lfunc_end5:
	.size	_ZN3sop19sopFactorTrivialRecEPjiiPN8subgUtil4SubgILi256EEE, .Lfunc_end5-_ZN3sop19sopFactorTrivialRecEPjiiPN8subgUtil4SubgILi256EEE
                                        ; -- End function
	.set .L_ZN3sop19sopFactorTrivialRecEPjiiPN8subgUtil4SubgILi256EEE.num_vgpr, max(58, .L_ZN3sop23sopFactorTrivialCubeRecEjiiPN8subgUtil4SubgILi256EEE.num_vgpr, .L__assert_fail.num_vgpr)
	.set .L_ZN3sop19sopFactorTrivialRecEPjiiPN8subgUtil4SubgILi256EEE.num_agpr, max(0, .L_ZN3sop23sopFactorTrivialCubeRecEjiiPN8subgUtil4SubgILi256EEE.num_agpr, .L__assert_fail.num_agpr)
	.set .L_ZN3sop19sopFactorTrivialRecEPjiiPN8subgUtil4SubgILi256EEE.numbered_sgpr, max(52, .L_ZN3sop23sopFactorTrivialCubeRecEjiiPN8subgUtil4SubgILi256EEE.numbered_sgpr, .L__assert_fail.numbered_sgpr)
	.set .L_ZN3sop19sopFactorTrivialRecEPjiiPN8subgUtil4SubgILi256EEE.num_named_barrier, max(0, .L_ZN3sop23sopFactorTrivialCubeRecEjiiPN8subgUtil4SubgILi256EEE.num_named_barrier, .L__assert_fail.num_named_barrier)
	.set .L_ZN3sop19sopFactorTrivialRecEPjiiPN8subgUtil4SubgILi256EEE.private_seg_size, 48+max(.L_ZN3sop23sopFactorTrivialCubeRecEjiiPN8subgUtil4SubgILi256EEE.private_seg_size, .L__assert_fail.private_seg_size)
	.set .L_ZN3sop19sopFactorTrivialRecEPjiiPN8subgUtil4SubgILi256EEE.uses_vcc, or(1, .L_ZN3sop23sopFactorTrivialCubeRecEjiiPN8subgUtil4SubgILi256EEE.uses_vcc, .L__assert_fail.uses_vcc)
	.set .L_ZN3sop19sopFactorTrivialRecEPjiiPN8subgUtil4SubgILi256EEE.uses_flat_scratch, or(1, .L_ZN3sop23sopFactorTrivialCubeRecEjiiPN8subgUtil4SubgILi256EEE.uses_flat_scratch, .L__assert_fail.uses_flat_scratch)
	.set .L_ZN3sop19sopFactorTrivialRecEPjiiPN8subgUtil4SubgILi256EEE.has_dyn_sized_stack, or(0, .L_ZN3sop23sopFactorTrivialCubeRecEjiiPN8subgUtil4SubgILi256EEE.has_dyn_sized_stack, .L__assert_fail.has_dyn_sized_stack)
	.set .L_ZN3sop19sopFactorTrivialRecEPjiiPN8subgUtil4SubgILi256EEE.has_recursion, or(1, .L_ZN3sop23sopFactorTrivialCubeRecEjiiPN8subgUtil4SubgILi256EEE.has_recursion, .L__assert_fail.has_recursion)
	.set .L_ZN3sop19sopFactorTrivialRecEPjiiPN8subgUtil4SubgILi256EEE.has_indirect_call, or(0, .L_ZN3sop23sopFactorTrivialCubeRecEjiiPN8subgUtil4SubgILi256EEE.has_indirect_call, .L__assert_fail.has_indirect_call)
	.section	.AMDGPU.csdata,"",@progbits
; Function info:
; codeLenInByte = 9428
; TotalNumSgprs: 54
; NumVgprs: 58
; ScratchSize: 144
; MemoryBound: 0
	.text
	.p2align	2                               ; -- Begin function _ZN3sop12sopFactorRecEPNS_3SopEiP7VecsMemIjLi8192EEPN8subgUtil4SubgILi256EEE
	.type	_ZN3sop12sopFactorRecEPNS_3SopEiP7VecsMemIjLi8192EEPN8subgUtil4SubgILi256EEE,@function
_ZN3sop12sopFactorRecEPNS_3SopEiP7VecsMemIjLi8192EEPN8subgUtil4SubgILi256EEE: ; @_ZN3sop12sopFactorRecEPNS_3SopEiP7VecsMemIjLi8192EEPN8subgUtil4SubgILi256EEE
; %bb.0:
	s_wait_loadcnt_dscnt 0x0
	s_wait_kmcnt 0x0
	s_mov_b32 s0, s33
	s_mov_b32 s33, s32
	s_or_saveexec_b32 s1, -1
	s_clause 0x1
	scratch_store_b32 off, v72, s33 offset:176
	; meta instruction
	scratch_store_b32 off, v73, s33 offset:180
	s_wait_xcnt 0x0
	s_mov_b32 exec_lo, s1
	v_writelane_b32 v72, s0, 24
	s_addk_co_i32 s32, 0xc0
	s_clause 0xf
	scratch_store_b32 off, v40, s33 offset:60
	; meta instruction
	scratch_store_b32 off, v41, s33 offset:56
	; meta instruction
	;; [unrolled: 2-line block ×15, first 2 shown]
	scratch_store_b32 off, v63, s33
	v_writelane_b32 v72, s34, 0
	v_writelane_b32 v72, s35, 1
	;; [unrolled: 1-line block ×24, first 2 shown]
	s_wait_xcnt 0xc
	v_dual_mov_b32 v43, v6 :: v_dual_mov_b32 v65, v1
	v_dual_mov_b32 v64, v0 :: v_dual_mov_b32 v42, v5
	s_wait_xcnt 0x2
	v_dual_mov_b32 v61, v4 :: v_dual_mov_b32 v60, v3
	v_mov_b32_e32 v41, v2
	flat_load_b32 v0, v[64:65] offset:4
	s_mov_b64 s[52:53], s[8:9]
	s_mov_b32 s54, 0
	s_mov_b32 s0, exec_lo
	s_wait_loadcnt_dscnt 0x0
	v_cmpx_gt_i32_e32 1, v0
	s_xor_b32 s17, exec_lo, s0
	s_cbranch_execnz .LBB6_5
; %bb.1:
	s_or_saveexec_b32 s55, s17
                                        ; implicit-def: $vgpr44
	s_delay_alu instid0(SALU_CYCLE_1)
	s_xor_b32 exec_lo, exec_lo, s55
	s_cbranch_execnz .LBB6_6
.LBB6_2:
	s_or_b32 exec_lo, exec_lo, s55
	s_and_saveexec_b32 s0, s54
.LBB6_3:
	; divergent unreachable
.LBB6_4:
	s_delay_alu instid0(SALU_CYCLE_1)
	s_or_b32 exec_lo, exec_lo, s0
	v_mov_b32_e32 v0, v44
	s_clause 0x4
	scratch_load_b32 v63, off, s33
	scratch_load_b32 v62, off, s33 offset:4
	scratch_load_b32 v61, off, s33 offset:8
	;; [unrolled: 1-line block ×4, first 2 shown]
	s_wait_loadcnt_dscnt 0x500
	s_clause 0xa
	scratch_load_b32 v58, off, s33 offset:20
	scratch_load_b32 v57, off, s33 offset:24
	;; [unrolled: 1-line block ×11, first 2 shown]
	v_readlane_b32 s30, v72, 22
	v_readlane_b32 s31, v72, 23
	;; [unrolled: 1-line block ×24, first 2 shown]
	s_mov_b32 s32, s33
	v_readlane_b32 s0, v72, 24
	s_wait_xcnt 0x0
	s_or_saveexec_b32 s1, -1
	s_clause 0x1
	scratch_load_b32 v72, off, s33 offset:176
	scratch_load_b32 v73, off, s33 offset:180
	s_wait_xcnt 0x0
	s_mov_b32 exec_lo, s1
	s_mov_b32 s33, s0
	s_wait_loadcnt 0x0
	s_wait_kmcnt 0x0
	s_set_pc_i64 s[30:31]
.LBB6_5:
	s_get_pc_i64 s[0:1]
	s_add_nc_u64 s[0:1], s[0:1], .str.33@rel64+4
	s_get_pc_i64 s[2:3]
	s_add_nc_u64 s[2:3], s[2:3], .str.31@rel64+4
	s_get_pc_i64 s[4:5]
	s_add_nc_u64 s[4:5], s[4:5], __PRETTY_FUNCTION__._ZN3sop12sopFactorRecEPNS_3SopEiP7VecsMemIjLi8192EEPN8subgUtil4SubgILi256EEE@rel64+4
	v_dual_mov_b32 v0, s0 :: v_dual_mov_b32 v1, s1
	v_dual_mov_b32 v2, s2 :: v_dual_mov_b32 v3, s3
	;; [unrolled: 1-line block ×3, first 2 shown]
	v_mov_b32_e32 v6, s5
	s_get_pc_i64 s[6:7]
	s_add_nc_u64 s[6:7], s[6:7], __assert_fail@rel64+4
	s_mov_b64 s[8:9], s[52:53]
	s_swap_pc_i64 s[30:31], s[6:7]
	s_mov_b32 s54, exec_lo
                                        ; implicit-def: $vgpr60
                                        ; implicit-def: $vgpr0
                                        ; implicit-def: $vgpr41
                                        ; implicit-def: $vgpr64_vgpr65
                                        ; implicit-def: $vgpr42
	s_or_saveexec_b32 s55, s17
                                        ; implicit-def: $vgpr44
	s_delay_alu instid0(SALU_CYCLE_1)
	s_xor_b32 exec_lo, exec_lo, s55
	s_cbranch_execz .LBB6_2
.LBB6_6:
	v_cmp_ne_u32_e32 vcc_lo, 1, v0
	v_cmp_lt_i32_e64 s28, 0, v41
	s_mov_b32 s65, 0
	s_mov_b32 s1, -1
	s_mov_b32 s64, s54
	s_mov_b32 s0, -1
	s_and_b32 s2, s28, vcc_lo
                                        ; implicit-def: $vgpr55
                                        ; implicit-def: $vgpr80_vgpr81
	s_delay_alu instid0(SALU_CYCLE_1)
	s_and_saveexec_b32 s17, s2
	s_cbranch_execz .LBB6_67
; %bb.7:
	flat_load_b64 v[4:5], v[64:65] offset:8
	v_bfe_u32 v2, v0, 1, 30
	v_mov_b32_e32 v3, 0
	v_and_b32_e32 v1, 0x7ffffffe, v0
	v_and_b32_e32 v8, 0x80000001, v0
	s_mov_b32 s2, 0
	s_mov_b32 s3, 0
                                        ; implicit-def: $sgpr1
                                        ; implicit-def: $sgpr4
	s_delay_alu instid0(VALU_DEP_2)
	v_cmp_ne_u32_e32 vcc_lo, v0, v1
	s_wait_loadcnt_dscnt 0x0
	v_lshl_add_u64 v[2:3], v[2:3], 3, v[4:5]
	s_branch .LBB6_9
.LBB6_8:                                ;   in Loop: Header=BB6_9 Depth=1
	s_or_b32 exec_lo, exec_lo, s6
	s_delay_alu instid0(SALU_CYCLE_1) | instskip(NEXT) | instid1(SALU_CYCLE_1)
	s_and_b32 s0, exec_lo, s5
	s_or_b32 s2, s0, s2
	s_and_not1_b32 s0, s1, exec_lo
	s_and_b32 s1, s4, exec_lo
	s_delay_alu instid0(SALU_CYCLE_1)
	s_or_b32 s1, s0, s1
	s_and_not1_b32 exec_lo, exec_lo, s2
	s_cbranch_execz .LBB6_17
.LBB6_9:                                ; =>This Loop Header: Depth=1
                                        ;     Child Loop BB6_10 Depth 2
                                        ;     Child Loop BB6_13 Depth 2
	v_mov_b64_e32 v[6:7], v[4:5]
	v_dual_mov_b32 v9, 0 :: v_dual_mov_b32 v11, v1
	v_mov_b32_e32 v10, 0
	s_mov_b32 s6, s3
	s_mov_b32 s5, 0
.LBB6_10:                               ;   Parent Loop BB6_9 Depth=1
                                        ; =>  This Inner Loop Header: Depth=2
	flat_load_b64 v[12:13], v[6:7]
	s_wait_xcnt 0x0
	v_add_nc_u64_e32 v[6:7], 8, v[6:7]
	s_wait_loadcnt_dscnt 0x0
	v_dual_lshrrev_b32 v13, s6, v13 :: v_dual_lshrrev_b32 v12, s3, v12
	s_delay_alu instid0(VALU_DEP_1) | instskip(NEXT) | instid1(VALU_DEP_2)
	v_dual_add_nc_u32 v11, -2, v11 :: v_dual_bitop2_b32 v13, 1, v13 bitop3:0x40
	v_and_b32_e32 v12, 1, v12
	s_delay_alu instid0(VALU_DEP_2) | instskip(NEXT) | instid1(VALU_DEP_2)
	v_cmp_eq_u32_e64 s0, 0, v11
	v_dual_add_nc_u32 v9, v13, v9 :: v_dual_add_nc_u32 v10, v12, v10
	s_or_b32 s5, s0, s5
	s_delay_alu instid0(SALU_CYCLE_1)
	s_and_not1_b32 exec_lo, exec_lo, s5
	s_cbranch_execnz .LBB6_10
; %bb.11:                               ;   in Loop: Header=BB6_9 Depth=1
	s_or_b32 exec_lo, exec_lo, s5
	v_add_nc_u32_e32 v9, v10, v9
	s_and_saveexec_b32 s5, vcc_lo
	s_cbranch_execz .LBB6_15
; %bb.12:                               ;   in Loop: Header=BB6_9 Depth=1
	v_mov_b64_e32 v[6:7], v[2:3]
	v_mov_b32_e32 v10, v8
	s_mov_b32 s6, 0
.LBB6_13:                               ;   Parent Loop BB6_9 Depth=1
                                        ; =>  This Inner Loop Header: Depth=2
	flat_load_b32 v11, v[6:7]
	s_wait_xcnt 0x0
	v_add_nc_u64_e32 v[6:7], 4, v[6:7]
	s_wait_loadcnt_dscnt 0x0
	v_bfe_u32 v11, v11, s3, 1
	s_delay_alu instid0(VALU_DEP_1) | instskip(NEXT) | instid1(VALU_DEP_1)
	v_dual_add_nc_u32 v10, -1, v10 :: v_dual_add_nc_u32 v9, v11, v9
	v_cmp_eq_u32_e64 s0, 0, v10
	s_or_b32 s6, s0, s6
	s_delay_alu instid0(SALU_CYCLE_1)
	s_and_not1_b32 exec_lo, exec_lo, s6
	s_cbranch_execnz .LBB6_13
; %bb.14:                               ;   in Loop: Header=BB6_9 Depth=1
	s_or_b32 exec_lo, exec_lo, s6
.LBB6_15:                               ;   in Loop: Header=BB6_9 Depth=1
	s_delay_alu instid0(SALU_CYCLE_1)
	s_or_b32 exec_lo, exec_lo, s5
	s_mov_b32 s5, -1
	s_or_b32 s4, s4, exec_lo
	s_mov_b32 s6, exec_lo
	v_cmpx_gt_u32_e32 2, v9
	s_cbranch_execz .LBB6_8
; %bb.16:                               ;   in Loop: Header=BB6_9 Depth=1
	s_add_co_i32 s3, s3, 1
	s_and_not1_b32 s4, s4, exec_lo
	v_cmp_eq_u32_e64 s0, s3, v41
	s_or_not1_b32 s5, s0, exec_lo
	s_branch .LBB6_8
.LBB6_17:
	s_or_b32 exec_lo, exec_lo, s2
	s_mov_b32 s2, 0
	s_mov_b32 s3, -1
	s_mov_b32 s5, s54
	s_mov_b32 s4, -1
                                        ; implicit-def: $vgpr55
                                        ; implicit-def: $vgpr80_vgpr81
	s_and_saveexec_b32 s0, s1
	s_delay_alu instid0(SALU_CYCLE_1)
	s_xor_b32 s18, exec_lo, s0
	s_cbranch_execz .LBB6_66
; %bb.18:
	flat_load_b32 v1, v[60:61]
	s_mov_b32 s0, 0
	s_mov_b32 s1, -1
	s_mov_b32 s2, s54
	s_mov_b32 s19, exec_lo
                                        ; implicit-def: $vgpr55
                                        ; implicit-def: $vgpr80_vgpr81
	s_wait_loadcnt_dscnt 0x0
	v_dual_mov_b32 v1, 0 :: v_dual_add_nc_u32 v6, v1, v0
	scratch_store_b32 off, v1, s33 offset:132
	s_wait_xcnt 0x0
	v_cmpx_gt_i32_e32 0x2001, v6
	s_cbranch_execz .LBB6_65
; %bb.19:
	v_ashrrev_i32_e32 v7, 31, v6
	v_lshlrev_b64_e32 v[0:1], 2, v[0:1]
	flat_store_b32 v[60:61], v6
	s_mov_b32 s1, 0
	v_lshlrev_b64_e32 v[2:3], 2, v[6:7]
	s_delay_alu instid0(VALU_DEP_1) | instskip(SKIP_1) | instid1(VALU_DEP_2)
	v_sub_nc_u64_e32 v[8:9], v[2:3], v[0:1]
	v_add_nc_u64_e32 v[2:3], v[60:61], v[2:3]
	v_add_nc_u64_e32 v[8:9], v[60:61], v[8:9]
	s_delay_alu instid0(VALU_DEP_2) | instskip(NEXT) | instid1(VALU_DEP_2)
	v_sub_nc_u64_e32 v[0:1], v[2:3], v[0:1]
	v_add_nc_u64_e32 v[2:3], 4, v[8:9]
	s_delay_alu instid0(VALU_DEP_2) | instskip(NEXT) | instid1(VALU_DEP_2)
	v_add_nc_u64_e32 v[80:81], 4, v[0:1]
	v_mov_b64_e32 v[8:9], v[2:3]
	scratch_store_b64 off, v[80:81], s33 offset:136
.LBB6_20:                               ; =>This Inner Loop Header: Depth=1
	flat_load_b32 v6, v[4:5]
	s_add_co_i32 s1, s1, 1
	s_wait_xcnt 0x0
	v_add_nc_u64_e32 v[4:5], 4, v[4:5]
	s_wait_loadcnt_dscnt 0x0
	flat_store_b32 v[8:9], v6
	flat_load_b32 v6, v[64:65] offset:4
	v_add_nc_u64_e32 v[8:9], 4, v[8:9]
	s_wait_loadcnt_dscnt 0x0
	v_cmp_ge_i32_e32 vcc_lo, s1, v6
	v_mov_b32_e32 v6, s1
	s_or_b32 s0, vcc_lo, s0
	s_wait_xcnt 0x0
	s_and_not1_b32 exec_lo, exec_lo, s0
	s_cbranch_execnz .LBB6_20
; %bb.21:
	s_or_b32 exec_lo, exec_lo, s0
	v_mov_b32_e32 v5, 0
	s_mov_b32 s6, 0
                                        ; implicit-def: $sgpr5
	s_branch .LBB6_25
.LBB6_22:                               ;   in Loop: Header=BB6_25 Depth=1
	s_or_b32 exec_lo, exec_lo, s3
.LBB6_23:                               ;   in Loop: Header=BB6_25 Depth=1
	s_delay_alu instid0(SALU_CYCLE_1) | instskip(NEXT) | instid1(SALU_CYCLE_1)
	s_or_b32 exec_lo, exec_lo, s1
	s_xor_b32 s1, exec_lo, -1
.LBB6_24:                               ;   in Loop: Header=BB6_25 Depth=1
	s_or_b32 exec_lo, exec_lo, s2
	s_delay_alu instid0(SALU_CYCLE_1) | instskip(NEXT) | instid1(SALU_CYCLE_1)
	s_and_b32 s0, exec_lo, s1
	s_or_b32 s6, s0, s6
	s_and_not1_b32 s0, s5, exec_lo
	s_and_b32 s1, vcc_lo, exec_lo
	s_delay_alu instid0(SALU_CYCLE_1)
	s_or_b32 s5, s0, s1
	s_and_not1_b32 exec_lo, exec_lo, s6
	s_cbranch_execz .LBB6_62
.LBB6_25:                               ; =>This Loop Header: Depth=1
                                        ;     Child Loop BB6_28 Depth 2
                                        ;       Child Loop BB6_31 Depth 3
                                        ;       Child Loop BB6_35 Depth 3
                                        ;     Child Loop BB6_41 Depth 2
                                        ;     Child Loop BB6_47 Depth 2
	;; [unrolled: 1-line block ×5, first 2 shown]
	v_dual_mov_b32 v55, v6 :: v_dual_mov_b32 v8, -1
	v_mov_b32_e32 v10, 0xf4240
	s_mov_b32 s7, 0
	s_mov_b32 s8, 0
	s_delay_alu instid0(VALU_DEP_2) | instskip(SKIP_3) | instid1(VALU_DEP_4)
	v_and_b32_e32 v9, 0x7ffffffe, v55
	v_cmp_lt_i32_e64 s0, 0, v55
	v_cmp_ne_u32_e64 s1, 1, v55
	v_cmp_gt_i32_e32 vcc_lo, 1, v55
	v_cmp_ne_u32_e64 s2, v55, v9
	s_branch .LBB6_28
.LBB6_26:                               ;   in Loop: Header=BB6_28 Depth=2
	s_or_b32 exec_lo, exec_lo, s9
.LBB6_27:                               ;   in Loop: Header=BB6_28 Depth=2
	s_delay_alu instid0(SALU_CYCLE_1) | instskip(NEXT) | instid1(VALU_DEP_1)
	s_or_b32 exec_lo, exec_lo, s4
	v_cmp_lt_u32_e64 s3, 1, v11
	v_cmp_gt_i32_e64 s4, v10, v11
	s_and_b32 s3, s3, s4
	s_delay_alu instid0(SALU_CYCLE_1) | instskip(SKIP_4) | instid1(SALU_CYCLE_1)
	v_cndmask_b32_e64 v8, v8, s8, s3
	s_add_co_i32 s8, s8, 1
	v_cndmask_b32_e64 v10, v10, v11, s3
	v_cmp_eq_u32_e64 s4, s8, v41
	s_or_b32 s7, s4, s7
	s_and_not1_b32 exec_lo, exec_lo, s7
	s_cbranch_execz .LBB6_37
.LBB6_28:                               ;   Parent Loop BB6_25 Depth=1
                                        ; =>  This Loop Header: Depth=2
                                        ;       Child Loop BB6_31 Depth 3
                                        ;       Child Loop BB6_35 Depth 3
	v_mov_b32_e32 v11, 0
	s_and_saveexec_b32 s4, s0
	s_cbranch_execz .LBB6_27
; %bb.29:                               ;   in Loop: Header=BB6_28 Depth=2
	v_dual_mov_b32 v4, 0 :: v_dual_mov_b32 v11, 0
	s_mov_b32 s3, -1
	s_and_saveexec_b32 s9, s1
	s_cbranch_execz .LBB6_33
; %bb.30:                               ;   in Loop: Header=BB6_28 Depth=2
	v_mov_b64_e32 v[6:7], v[2:3]
	v_dual_mov_b32 v4, 0 :: v_dual_mov_b32 v11, 0
	v_mov_b32_e32 v12, v9
	s_mov_b32 s11, s8
	s_mov_b32 s10, 0
.LBB6_31:                               ;   Parent Loop BB6_25 Depth=1
                                        ;     Parent Loop BB6_28 Depth=2
                                        ; =>    This Inner Loop Header: Depth=3
	flat_load_b64 v[14:15], v[6:7]
	s_wait_xcnt 0x0
	v_add_nc_u64_e32 v[6:7], 8, v[6:7]
	s_wait_loadcnt_dscnt 0x0
	v_dual_lshrrev_b32 v13, s11, v15 :: v_dual_lshrrev_b32 v14, s8, v14
	s_delay_alu instid0(VALU_DEP_1) | instskip(NEXT) | instid1(VALU_DEP_2)
	v_dual_add_nc_u32 v12, -2, v12 :: v_dual_bitop2_b32 v13, 1, v13 bitop3:0x40
	v_and_b32_e32 v14, 1, v14
	s_delay_alu instid0(VALU_DEP_2) | instskip(NEXT) | instid1(VALU_DEP_2)
	v_cmp_eq_u32_e64 s3, 0, v12
	v_dual_add_nc_u32 v11, v13, v11 :: v_dual_add_nc_u32 v4, v14, v4
	s_or_b32 s10, s3, s10
	s_delay_alu instid0(SALU_CYCLE_1)
	s_and_not1_b32 exec_lo, exec_lo, s10
	s_cbranch_execnz .LBB6_31
; %bb.32:                               ;   in Loop: Header=BB6_28 Depth=2
	s_or_b32 exec_lo, exec_lo, s10
	v_dual_mov_b32 v4, v9 :: v_dual_add_nc_u32 v11, v4, v11
	s_or_not1_b32 s3, s2, exec_lo
.LBB6_33:                               ;   in Loop: Header=BB6_28 Depth=2
	s_or_b32 exec_lo, exec_lo, s9
	s_and_saveexec_b32 s9, s3
	s_cbranch_execz .LBB6_26
; %bb.34:                               ;   in Loop: Header=BB6_28 Depth=2
	v_sub_nc_u32_e32 v12, v55, v4
	v_lshl_add_u64 v[6:7], v[4:5], 2, v[2:3]
	s_mov_b32 s10, 0
.LBB6_35:                               ;   Parent Loop BB6_25 Depth=1
                                        ;     Parent Loop BB6_28 Depth=2
                                        ; =>    This Inner Loop Header: Depth=3
	flat_load_b32 v4, v[6:7]
	s_wait_xcnt 0x0
	v_add_nc_u64_e32 v[6:7], 4, v[6:7]
	s_wait_loadcnt_dscnt 0x0
	v_bfe_u32 v4, v4, s8, 1
	s_delay_alu instid0(VALU_DEP_1) | instskip(NEXT) | instid1(VALU_DEP_1)
	v_dual_add_nc_u32 v12, -1, v12 :: v_dual_add_nc_u32 v11, v4, v11
	v_cmp_eq_u32_e64 s3, 0, v12
	s_or_b32 s10, s3, s10
	s_delay_alu instid0(SALU_CYCLE_1)
	s_and_not1_b32 exec_lo, exec_lo, s10
	s_cbranch_execnz .LBB6_35
; %bb.36:                               ;   in Loop: Header=BB6_28 Depth=2
	s_or_b32 exec_lo, exec_lo, s10
	s_branch .LBB6_26
.LBB6_37:                               ;   in Loop: Header=BB6_25 Depth=1
	s_or_b32 exec_lo, exec_lo, s7
	v_cmp_gt_i32_e64 s1, 0xf4240, v10
	v_cmp_ne_u32_e64 s2, -1, v8
                                        ; implicit-def: $vgpr6
	s_and_b32 s3, s1, s2
	s_mov_b32 s1, -1
	s_and_saveexec_b32 s2, s3
	s_cbranch_execz .LBB6_24
; %bb.38:                               ;   in Loop: Header=BB6_25 Depth=1
	v_mov_b32_e32 v6, 0
	s_and_saveexec_b32 s1, s0
	s_cbranch_execz .LBB6_44
; %bb.39:                               ;   in Loop: Header=BB6_25 Depth=1
	v_lshlrev_b32_e64 v4, v8, 1
	v_mov_b64_e32 v[8:9], v[2:3]
	v_mov_b32_e32 v6, 0
	s_mov_b32 s3, 0
	s_mov_b32 s4, 0
	v_not_b32_e32 v10, v4
	s_branch .LBB6_41
.LBB6_40:                               ;   in Loop: Header=BB6_41 Depth=2
	s_wait_xcnt 0x0
	s_or_b32 exec_lo, exec_lo, s7
	s_add_co_i32 s4, s4, 1
	v_add_nc_u64_e32 v[8:9], 4, v[8:9]
	v_cmp_ge_i32_e64 s0, s4, v55
	s_or_b32 s3, s0, s3
	s_delay_alu instid0(SALU_CYCLE_1)
	s_and_not1_b32 exec_lo, exec_lo, s3
	s_cbranch_execz .LBB6_43
.LBB6_41:                               ;   Parent Loop BB6_25 Depth=1
                                        ; =>  This Inner Loop Header: Depth=2
	flat_load_b32 v11, v[8:9]
	s_mov_b32 s7, exec_lo
	s_wait_loadcnt_dscnt 0x0
	v_and_b32_e32 v7, v11, v4
	s_wait_xcnt 0x0
	s_delay_alu instid0(VALU_DEP_1)
	v_cmpx_ne_u32_e32 0, v7
	s_cbranch_execz .LBB6_40
; %bb.42:                               ;   in Loop: Header=BB6_41 Depth=2
	v_dual_ashrrev_i32 v7, 31, v6 :: v_dual_add_nc_u32 v14, 1, v6
	v_and_b32_e32 v11, v11, v10
	s_delay_alu instid0(VALU_DEP_2) | instskip(NEXT) | instid1(VALU_DEP_3)
	v_lshl_add_u64 v[12:13], v[6:7], 2, v[0:1]
	v_mov_b32_e32 v6, v14
	flat_store_b32 v[12:13], v11 offset:4
	s_branch .LBB6_40
.LBB6_43:                               ;   in Loop: Header=BB6_25 Depth=1
	s_or_b32 exec_lo, exec_lo, s3
.LBB6_44:                               ;   in Loop: Header=BB6_25 Depth=1
	s_delay_alu instid0(SALU_CYCLE_1) | instskip(NEXT) | instid1(VALU_DEP_1)
	s_or_b32 exec_lo, exec_lo, s1
	v_cmp_gt_i32_e64 s0, 1, v6
	v_mov_b32_e32 v7, -1
	s_mov_b32 s3, exec_lo
	v_cmpx_lt_i32_e32 0, v6
	s_cbranch_execz .LBB6_54
; %bb.45:                               ;   in Loop: Header=BB6_25 Depth=1
	v_dual_mov_b32 v4, 0 :: v_dual_mov_b32 v7, -1
	s_mov_b32 s7, -1
	s_mov_b32 s4, exec_lo
	v_cmpx_ne_u32_e32 1, v6
	s_cbranch_execz .LBB6_49
; %bb.46:                               ;   in Loop: Header=BB6_25 Depth=1
	v_and_b32_e32 v4, 0x7ffffffe, v6
	v_mov_b64_e32 v[8:9], v[2:3]
	v_dual_mov_b32 v7, -1 :: v_dual_mov_b32 v10, -1
	s_mov_b32 s7, 0
	s_delay_alu instid0(VALU_DEP_3)
	v_mov_b32_e32 v11, v4
.LBB6_47:                               ;   Parent Loop BB6_25 Depth=1
                                        ; =>  This Inner Loop Header: Depth=2
	flat_load_b64 v[12:13], v[8:9]
	v_add_nc_u32_e32 v11, -2, v11
	s_wait_xcnt 0x0
	v_add_nc_u64_e32 v[8:9], 8, v[8:9]
	s_wait_loadcnt_dscnt 0x0
	v_and_b32_e32 v10, v13, v10
	v_cmp_eq_u32_e64 s1, 0, v11
	v_and_b32_e32 v7, v12, v7
	s_or_b32 s7, s1, s7
	s_delay_alu instid0(SALU_CYCLE_1)
	s_and_not1_b32 exec_lo, exec_lo, s7
	s_cbranch_execnz .LBB6_47
; %bb.48:                               ;   in Loop: Header=BB6_25 Depth=1
	s_or_b32 exec_lo, exec_lo, s7
	v_cmp_ne_u32_e64 s1, v6, v4
	v_and_b32_e32 v7, v7, v10
	s_or_not1_b32 s7, s1, exec_lo
.LBB6_49:                               ;   in Loop: Header=BB6_25 Depth=1
	s_or_b32 exec_lo, exec_lo, s4
	s_and_saveexec_b32 s4, s7
	s_cbranch_execz .LBB6_53
; %bb.50:                               ;   in Loop: Header=BB6_25 Depth=1
	v_sub_nc_u32_e32 v10, v6, v4
	v_lshl_add_u64 v[8:9], v[4:5], 2, v[2:3]
	s_mov_b32 s7, 0
.LBB6_51:                               ;   Parent Loop BB6_25 Depth=1
                                        ; =>  This Inner Loop Header: Depth=2
	flat_load_b32 v4, v[8:9]
	v_add_nc_u32_e32 v10, -1, v10
	s_wait_xcnt 0x0
	v_add_nc_u64_e32 v[8:9], 4, v[8:9]
	s_wait_loadcnt_dscnt 0x0
	v_and_b32_e32 v7, v4, v7
	v_cmp_eq_u32_e64 s1, 0, v10
	s_or_b32 s7, s1, s7
	s_delay_alu instid0(SALU_CYCLE_1)
	s_and_not1_b32 exec_lo, exec_lo, s7
	s_cbranch_execnz .LBB6_51
; %bb.52:                               ;   in Loop: Header=BB6_25 Depth=1
	s_or_b32 exec_lo, exec_lo, s7
.LBB6_53:                               ;   in Loop: Header=BB6_25 Depth=1
	s_delay_alu instid0(SALU_CYCLE_1)
	s_or_b32 exec_lo, exec_lo, s4
.LBB6_54:                               ;   in Loop: Header=BB6_25 Depth=1
	s_delay_alu instid0(SALU_CYCLE_1) | instskip(SKIP_2) | instid1(SALU_CYCLE_1)
	s_or_b32 exec_lo, exec_lo, s3
	v_cmp_ne_u32_e64 s1, 0, v7
	s_xor_b32 s0, s0, -1
	s_and_b32 s0, s0, s1
	s_delay_alu instid0(SALU_CYCLE_1) | instskip(NEXT) | instid1(SALU_CYCLE_1)
	s_and_saveexec_b32 s1, s0
	s_xor_b32 s1, exec_lo, s1
	s_cbranch_execz .LBB6_23
; %bb.55:                               ;   in Loop: Header=BB6_25 Depth=1
	v_not_b32_e32 v8, v7
	v_mov_b32_e32 v4, 0
	s_mov_b32 s4, -1
	s_mov_b32 s3, exec_lo
	v_cmpx_lt_u32_e32 1, v6
	s_cbranch_execz .LBB6_59
; %bb.56:                               ;   in Loop: Header=BB6_25 Depth=1
	v_and_b32_e32 v4, 0x7ffffffe, v6
	v_mov_b64_e32 v[10:11], v[2:3]
	v_mov_b32_e32 v7, v8
	s_mov_b32 s4, 0
	s_delay_alu instid0(VALU_DEP_3)
	v_mov_b32_e32 v9, v4
.LBB6_57:                               ;   Parent Loop BB6_25 Depth=1
                                        ; =>  This Inner Loop Header: Depth=2
	flat_load_b64 v[12:13], v[10:11]
	s_wait_loadcnt_dscnt 0x0
	v_dual_add_nc_u32 v9, -2, v9 :: v_dual_bitop2_b32 v13, v13, v7 bitop3:0x40
	v_and_b32_e32 v12, v12, v8
	s_delay_alu instid0(VALU_DEP_2) | instskip(SKIP_4) | instid1(SALU_CYCLE_1)
	v_cmp_eq_u32_e64 s0, 0, v9
	flat_store_b64 v[10:11], v[12:13]
	s_wait_xcnt 0x0
	v_add_nc_u64_e32 v[10:11], 8, v[10:11]
	s_or_b32 s4, s0, s4
	s_and_not1_b32 exec_lo, exec_lo, s4
	s_cbranch_execnz .LBB6_57
; %bb.58:                               ;   in Loop: Header=BB6_25 Depth=1
	s_or_b32 exec_lo, exec_lo, s4
	v_cmp_ne_u32_e64 s0, v6, v4
	s_or_not1_b32 s4, s0, exec_lo
.LBB6_59:                               ;   in Loop: Header=BB6_25 Depth=1
	s_or_b32 exec_lo, exec_lo, s3
	s_and_saveexec_b32 s3, s4
	s_cbranch_execz .LBB6_22
; %bb.60:                               ;   in Loop: Header=BB6_25 Depth=1
	v_sub_nc_u32_e32 v7, v6, v4
	v_lshl_add_u64 v[10:11], v[4:5], 2, v[2:3]
	s_mov_b32 s4, 0
.LBB6_61:                               ;   Parent Loop BB6_25 Depth=1
                                        ; =>  This Inner Loop Header: Depth=2
	flat_load_b32 v4, v[10:11]
	s_wait_loadcnt_dscnt 0x0
	v_dual_add_nc_u32 v7, -1, v7 :: v_dual_bitop2_b32 v4, v4, v8 bitop3:0x40
	s_delay_alu instid0(VALU_DEP_1) | instskip(SKIP_4) | instid1(SALU_CYCLE_1)
	v_cmp_eq_u32_e64 s0, 0, v7
	flat_store_b32 v[10:11], v4
	s_wait_xcnt 0x0
	v_add_nc_u64_e32 v[10:11], 4, v[10:11]
	s_or_b32 s4, s0, s4
	s_and_not1_b32 exec_lo, exec_lo, s4
	s_cbranch_execnz .LBB6_61
	s_branch .LBB6_22
.LBB6_62:
	s_or_b32 exec_lo, exec_lo, s6
	s_mov_b32 s0, -1
	s_mov_b32 s1, s54
	scratch_store_b32 off, v55, s33 offset:132
	s_wait_xcnt 0x0
	s_and_saveexec_b32 s20, s5
	s_cbranch_execz .LBB6_64
; %bb.63:
	s_get_pc_i64 s[0:1]
	s_add_nc_u64 s[0:1], s[0:1], .str.35@rel64+4
	s_get_pc_i64 s[2:3]
	s_add_nc_u64 s[2:3], s[2:3], .str.31@rel64+4
	s_get_pc_i64 s[4:5]
	s_add_nc_u64 s[4:5], s[4:5], __PRETTY_FUNCTION__._ZN3sop10sopDivisorEPNS_3SopES1_iP7VecsMemIjLi8192EE@rel64+4
	v_dual_mov_b32 v0, s0 :: v_dual_mov_b32 v1, s1
	v_dual_mov_b32 v2, s2 :: v_dual_mov_b32 v3, s3
	;; [unrolled: 1-line block ×3, first 2 shown]
	v_mov_b32_e32 v6, s5
	s_get_pc_i64 s[6:7]
	s_add_nc_u64 s[6:7], s[6:7], __assert_fail@rel64+4
	s_mov_b64 s[8:9], s[52:53]
	s_swap_pc_i64 s[30:31], s[6:7]
	s_or_b32 s1, s54, exec_lo
	s_xor_b32 s0, exec_lo, -1
.LBB6_64:
	s_or_b32 exec_lo, exec_lo, s20
	s_delay_alu instid0(SALU_CYCLE_1)
	s_and_not1_b32 s2, s54, exec_lo
	s_and_b32 s1, s1, exec_lo
	s_and_b32 s0, s0, exec_lo
	s_or_b32 s2, s2, s1
	s_xor_b32 s1, exec_lo, -1
.LBB6_65:
	s_or_b32 exec_lo, exec_lo, s19
	s_delay_alu instid0(SALU_CYCLE_1)
	s_and_not1_b32 s3, s54, exec_lo
	s_and_b32 s2, s2, exec_lo
	s_or_not1_b32 s4, s1, exec_lo
	s_or_b32 s5, s3, s2
	s_and_b32 s2, s1, exec_lo
	s_or_not1_b32 s3, s0, exec_lo
.LBB6_66:
	s_or_b32 exec_lo, exec_lo, s18
	s_delay_alu instid0(SALU_CYCLE_1)
	s_and_not1_b32 s1, s54, exec_lo
	s_and_b32 s5, s5, exec_lo
	s_or_not1_b32 s0, s4, exec_lo
	s_or_b32 s64, s1, s5
	s_and_b32 s65, s2, exec_lo
	s_or_not1_b32 s1, s3, exec_lo
.LBB6_67:
	s_or_b32 exec_lo, exec_lo, s17
                                        ; implicit-def: $vgpr44
	s_and_saveexec_b32 s66, s1
	s_cbranch_execz .LBB6_2817
; %bb.68:
	s_xor_b32 s0, s0, -1
	s_mov_b32 s67, s64
                                        ; implicit-def: $vgpr44
	s_and_saveexec_b32 s1, s0
	s_delay_alu instid0(SALU_CYCLE_1)
	s_xor_b32 s20, exec_lo, s1
	s_cbranch_execz .LBB6_2814
; %bb.69:
	flat_load_b32 v58, v[64:65] offset:4
	s_mov_b32 s17, s64
                                        ; implicit-def: $vgpr44
	s_mov_b32 s0, exec_lo
	s_wait_loadcnt_dscnt 0x0
	v_cmpx_ge_i32_e64 v58, v55
	s_xor_b32 s21, exec_lo, s0
	s_cbranch_execz .LBB6_2811
; %bb.70:
	s_mov_b32 s22, 0
	s_mov_b32 s0, 0
	;; [unrolled: 1-line block ×3, first 2 shown]
                                        ; implicit-def: $vgpr70
                                        ; implicit-def: $vgpr68_vgpr69
                                        ; implicit-def: $vgpr66_vgpr67
	s_mov_b32 s1, exec_lo
	v_cmpx_ne_u32_e32 1, v55
	s_xor_b32 s17, exec_lo, s1
	s_cbranch_execnz .LBB6_73
; %bb.71:
	s_or_saveexec_b32 s1, s17
	s_mov_b32 s25, 0
	s_xor_b32 exec_lo, exec_lo, s1
	s_cbranch_execnz .LBB6_421
.LBB6_72:
	s_or_b32 exec_lo, exec_lo, s1
                                        ; implicit-def: $vgpr44
	s_and_saveexec_b32 s26, s0
	s_cbranch_execnz .LBB6_432
	s_branch .LBB6_2538
.LBB6_73:
	v_cvt_f32_u32_e32 v0, v55
	v_mov_b64_e32 v[68:69], 0
	s_mov_b32 s1, -1
	s_mov_b32 s18, s64
	s_mov_b32 s19, exec_lo
	v_rcp_iflag_f32_e32 v0, v0
	v_nop
	s_delay_alu instid0(TRANS32_DEP_1) | instskip(NEXT) | instid1(VALU_DEP_1)
	v_dual_mul_f32 v0, 0x4f7ffffe, v0 :: v_dual_sub_nc_u32 v1, 0, v55
	v_cvt_u32_f32_e32 v0, v0
	s_delay_alu instid0(VALU_DEP_1) | instskip(NEXT) | instid1(VALU_DEP_1)
	v_mul_lo_u32 v1, v1, v0
	v_mul_hi_u32 v1, v0, v1
	s_delay_alu instid0(VALU_DEP_1) | instskip(NEXT) | instid1(VALU_DEP_1)
	v_add_nc_u32_e32 v0, v0, v1
	v_mul_hi_u32 v0, v58, v0
	s_delay_alu instid0(VALU_DEP_1) | instskip(NEXT) | instid1(VALU_DEP_1)
	v_mul_lo_u32 v1, v0, v55
	v_dual_sub_nc_u32 v1, v58, v1 :: v_dual_add_nc_u32 v2, 1, v0
	s_delay_alu instid0(VALU_DEP_1) | instskip(SKIP_1) | instid1(VALU_DEP_2)
	v_sub_nc_u32_e32 v3, v1, v55
	v_cmp_ge_u32_e32 vcc_lo, v1, v55
	v_dual_cndmask_b32 v0, v0, v2 :: v_dual_cndmask_b32 v1, v1, v3
	s_delay_alu instid0(VALU_DEP_1) | instskip(NEXT) | instid1(VALU_DEP_2)
	v_add_nc_u32_e32 v2, 1, v0
	v_cmp_ge_u32_e32 vcc_lo, v1, v55
	s_delay_alu instid0(VALU_DEP_2)
	v_dual_mov_b32 v1, 0 :: v_dual_cndmask_b32 v0, v0, v2
	scratch_store_b32 off, v1, s33 offset:148
	s_wait_xcnt 0x0
	v_cmpx_lt_i32_e32 0, v0
	s_cbranch_execz .LBB6_213
; %bb.74:
	flat_load_b32 v1, v[60:61]
	v_mov_b64_e32 v[68:69], 0
	s_mov_b32 s23, 0
	s_mov_b32 s0, exec_lo
	s_wait_loadcnt_dscnt 0x0
	v_add_nc_u32_e32 v2, v1, v0
	s_wait_xcnt 0x0
	s_delay_alu instid0(VALU_DEP_1)
	v_cmpx_gt_i32_e32 0x2001, v2
	s_xor_b32 s0, exec_lo, s0
	s_cbranch_execz .LBB6_76
; %bb.75:
	v_dual_mov_b32 v1, 0 :: v_dual_ashrrev_i32 v3, 31, v2
	s_mov_b32 s23, exec_lo
	flat_store_b32 v[60:61], v2
	v_lshlrev_b64_e32 v[0:1], 2, v[0:1]
	v_lshl_add_u64 v[4:5], v[2:3], 2, v[60:61]
	s_delay_alu instid0(VALU_DEP_1) | instskip(NEXT) | instid1(VALU_DEP_1)
	v_sub_nc_u64_e32 v[0:1], v[4:5], v[0:1]
	v_add_nc_u64_e32 v[68:69], 4, v[0:1]
.LBB6_76:
	s_wait_xcnt 0x0
	s_or_saveexec_b32 s18, s0
	s_mov_b32 s0, s64
	s_xor_b32 exec_lo, exec_lo, s18
	s_cbranch_execz .LBB6_212
; %bb.77:
	s_load_b64 s[2:3], s[52:53], 0x50
	v_mbcnt_lo_u32_b32 v32, -1, 0
	v_mov_b64_e32 v[2:3], 0
	s_delay_alu instid0(VALU_DEP_2) | instskip(NEXT) | instid1(VALU_DEP_1)
	v_readfirstlane_b32 s0, v32
	v_cmp_eq_u32_e64 s0, s0, v32
	s_and_saveexec_b32 s1, s0
	s_cbranch_execz .LBB6_83
; %bb.78:
	v_mov_b32_e32 v0, 0
	s_mov_b32 s4, exec_lo
	s_wait_kmcnt 0x0
	global_load_b64 v[4:5], v0, s[2:3] offset:24 scope:SCOPE_SYS
	s_wait_loadcnt 0x0
	global_inv scope:SCOPE_SYS
	s_clause 0x1
	global_load_b64 v[2:3], v0, s[2:3] offset:40
	global_load_b64 v[6:7], v0, s[2:3]
	s_wait_loadcnt 0x1
	v_and_b32_e32 v2, v2, v4
	v_and_b32_e32 v3, v3, v5
	s_delay_alu instid0(VALU_DEP_1) | instskip(SKIP_1) | instid1(VALU_DEP_1)
	v_mul_u64_e32 v[2:3], 24, v[2:3]
	s_wait_loadcnt 0x0
	v_add_nc_u64_e32 v[2:3], v[6:7], v[2:3]
	global_load_b64 v[2:3], v[2:3], off scope:SCOPE_SYS
	s_wait_xcnt 0x0
	s_wait_loadcnt 0x0
	global_atomic_cmpswap_b64 v[2:3], v0, v[2:5], s[2:3] offset:24 th:TH_ATOMIC_RETURN scope:SCOPE_SYS
	s_wait_loadcnt 0x0
	global_inv scope:SCOPE_SYS
	s_wait_xcnt 0x0
	v_cmpx_ne_u64_e64 v[2:3], v[4:5]
	s_cbranch_execz .LBB6_82
; %bb.79:
	s_mov_b32 s5, 0
.LBB6_80:                               ; =>This Inner Loop Header: Depth=1
	s_sleep 1
	s_clause 0x1
	global_load_b64 v[6:7], v0, s[2:3] offset:40
	global_load_b64 v[8:9], v0, s[2:3]
	v_mov_b64_e32 v[4:5], v[2:3]
	s_wait_loadcnt 0x1
	s_delay_alu instid0(VALU_DEP_1) | instskip(SKIP_1) | instid1(VALU_DEP_1)
	v_and_b32_e32 v1, v6, v4
	s_wait_loadcnt 0x0
	v_mad_nc_u64_u32 v[2:3], v1, 24, v[8:9]
	s_delay_alu instid0(VALU_DEP_3) | instskip(NEXT) | instid1(VALU_DEP_1)
	v_and_b32_e32 v1, v7, v5
	v_mad_u32 v3, v1, 24, v3
	global_load_b64 v[2:3], v[2:3], off scope:SCOPE_SYS
	s_wait_xcnt 0x0
	s_wait_loadcnt 0x0
	global_atomic_cmpswap_b64 v[2:3], v0, v[2:5], s[2:3] offset:24 th:TH_ATOMIC_RETURN scope:SCOPE_SYS
	s_wait_loadcnt 0x0
	global_inv scope:SCOPE_SYS
	v_cmp_eq_u64_e32 vcc_lo, v[2:3], v[4:5]
	s_or_b32 s5, vcc_lo, s5
	s_wait_xcnt 0x0
	s_and_not1_b32 exec_lo, exec_lo, s5
	s_cbranch_execnz .LBB6_80
; %bb.81:
	s_or_b32 exec_lo, exec_lo, s5
.LBB6_82:
	s_delay_alu instid0(SALU_CYCLE_1)
	s_or_b32 exec_lo, exec_lo, s4
.LBB6_83:
	s_delay_alu instid0(SALU_CYCLE_1)
	s_or_b32 exec_lo, exec_lo, s1
	v_readfirstlane_b32 s4, v2
	v_mov_b32_e32 v1, 0
	v_readfirstlane_b32 s5, v3
	s_mov_b32 s1, exec_lo
	s_wait_kmcnt 0x0
	s_clause 0x1
	global_load_b64 v[8:9], v1, s[2:3] offset:40
	global_load_b128 v[4:7], v1, s[2:3]
	s_wait_loadcnt 0x1
	v_and_b32_e32 v10, s4, v8
	v_and_b32_e32 v11, s5, v9
	s_delay_alu instid0(VALU_DEP_1) | instskip(SKIP_1) | instid1(VALU_DEP_1)
	v_mul_u64_e32 v[2:3], 24, v[10:11]
	s_wait_loadcnt 0x0
	v_add_nc_u64_e32 v[8:9], v[4:5], v[2:3]
	s_wait_xcnt 0x0
	s_and_saveexec_b32 s6, s0
	s_cbranch_execz .LBB6_85
; %bb.84:
	v_mov_b64_e32 v[2:3], 0x100000002
	v_mov_b32_e32 v0, s1
	global_store_b128 v[8:9], v[0:3], off offset:8
.LBB6_85:
	s_wait_xcnt 0x0
	s_or_b32 exec_lo, exec_lo, s6
	v_lshlrev_b64_e32 v[2:3], 12, v[10:11]
	s_mov_b32 s8, 0
	v_dual_lshlrev_b32 v0, 6, v32 :: v_dual_mov_b32 v10, 33
	s_mov_b32 s10, s8
	s_mov_b32 s11, s8
	;; [unrolled: 1-line block ×3, first 2 shown]
	s_delay_alu instid0(VALU_DEP_2)
	v_add_nc_u64_e32 v[6:7], v[6:7], v[2:3]
	v_mov_b64_e32 v[16:17], s[10:11]
	v_mov_b64_e32 v[14:15], s[8:9]
	v_dual_mov_b32 v11, v1 :: v_dual_mov_b32 v12, v1
	v_mov_b32_e32 v13, v1
	v_readfirstlane_b32 s6, v6
	v_readfirstlane_b32 s7, v7
	s_clause 0x3
	global_store_b128 v0, v[10:13], s[6:7]
	global_store_b128 v0, v[14:17], s[6:7] offset:16
	global_store_b128 v0, v[14:17], s[6:7] offset:32
	;; [unrolled: 1-line block ×3, first 2 shown]
	s_wait_xcnt 0x0
	s_and_saveexec_b32 s1, s0
	s_cbranch_execz .LBB6_93
; %bb.86:
	v_dual_mov_b32 v12, 0 :: v_dual_mov_b32 v15, s5
	s_mov_b32 s6, exec_lo
	s_clause 0x1
	global_load_b64 v[16:17], v12, s[2:3] offset:32 scope:SCOPE_SYS
	global_load_b64 v[2:3], v12, s[2:3] offset:40
	s_wait_loadcnt 0x0
	v_dual_mov_b32 v14, s4 :: v_dual_bitop2_b32 v3, s5, v3 bitop3:0x40
	v_and_b32_e32 v2, s4, v2
	s_delay_alu instid0(VALU_DEP_1) | instskip(NEXT) | instid1(VALU_DEP_1)
	v_mul_u64_e32 v[2:3], 24, v[2:3]
	v_add_nc_u64_e32 v[10:11], v[4:5], v[2:3]
	global_store_b64 v[10:11], v[16:17], off
	global_wb scope:SCOPE_SYS
	s_wait_storecnt 0x0
	s_wait_xcnt 0x0
	global_atomic_cmpswap_b64 v[4:5], v12, v[14:17], s[2:3] offset:32 th:TH_ATOMIC_RETURN scope:SCOPE_SYS
	s_wait_loadcnt 0x0
	v_cmpx_ne_u64_e64 v[4:5], v[16:17]
	s_cbranch_execz .LBB6_89
; %bb.87:
	s_mov_b32 s7, 0
.LBB6_88:                               ; =>This Inner Loop Header: Depth=1
	v_dual_mov_b32 v2, s4 :: v_dual_mov_b32 v3, s5
	s_sleep 1
	global_store_b64 v[10:11], v[4:5], off
	global_wb scope:SCOPE_SYS
	s_wait_storecnt 0x0
	s_wait_xcnt 0x0
	global_atomic_cmpswap_b64 v[2:3], v12, v[2:5], s[2:3] offset:32 th:TH_ATOMIC_RETURN scope:SCOPE_SYS
	s_wait_loadcnt 0x0
	v_cmp_eq_u64_e32 vcc_lo, v[2:3], v[4:5]
	v_mov_b64_e32 v[4:5], v[2:3]
	s_or_b32 s7, vcc_lo, s7
	s_delay_alu instid0(SALU_CYCLE_1)
	s_and_not1_b32 exec_lo, exec_lo, s7
	s_cbranch_execnz .LBB6_88
.LBB6_89:
	s_or_b32 exec_lo, exec_lo, s6
	v_mov_b32_e32 v5, 0
	s_mov_b32 s7, exec_lo
	s_mov_b32 s6, exec_lo
	v_mbcnt_lo_u32_b32 v4, s7, 0
	global_load_b64 v[2:3], v5, s[2:3] offset:16
	s_wait_xcnt 0x0
	v_cmpx_eq_u32_e32 0, v4
	s_cbranch_execz .LBB6_91
; %bb.90:
	s_bcnt1_i32_b32 s7, s7
	s_delay_alu instid0(SALU_CYCLE_1)
	v_mov_b32_e32 v4, s7
	global_wb scope:SCOPE_SYS
	s_wait_loadcnt 0x0
	s_wait_storecnt 0x0
	global_atomic_add_u64 v[2:3], v[4:5], off offset:8 scope:SCOPE_SYS
.LBB6_91:
	s_wait_xcnt 0x0
	s_or_b32 exec_lo, exec_lo, s6
	s_wait_loadcnt 0x0
	global_load_b64 v[4:5], v[2:3], off offset:16
	s_wait_loadcnt 0x0
	v_cmp_eq_u64_e32 vcc_lo, 0, v[4:5]
	s_cbranch_vccnz .LBB6_93
; %bb.92:
	global_load_b32 v2, v[2:3], off offset:24
	s_wait_xcnt 0x0
	v_mov_b32_e32 v3, 0
	s_wait_loadcnt 0x0
	v_readfirstlane_b32 s6, v2
	global_wb scope:SCOPE_SYS
	s_wait_storecnt 0x0
	global_store_b64 v[4:5], v[2:3], off scope:SCOPE_SYS
	s_and_b32 m0, s6, 0xffffff
	s_sendmsg sendmsg(MSG_INTERRUPT)
.LBB6_93:
	s_wait_xcnt 0x0
	s_or_b32 exec_lo, exec_lo, s1
	v_add_nc_u64_e32 v[2:3], v[6:7], v[0:1]
	s_branch .LBB6_97
.LBB6_94:                               ;   in Loop: Header=BB6_97 Depth=1
	s_wait_xcnt 0x0
	s_or_b32 exec_lo, exec_lo, s1
	s_delay_alu instid0(VALU_DEP_1)
	v_readfirstlane_b32 s1, v1
	s_cmp_eq_u32 s1, 0
	s_cbranch_scc1 .LBB6_96
; %bb.95:                               ;   in Loop: Header=BB6_97 Depth=1
	s_sleep 1
	s_cbranch_execnz .LBB6_97
	s_branch .LBB6_99
.LBB6_96:
	s_branch .LBB6_99
.LBB6_97:                               ; =>This Inner Loop Header: Depth=1
	v_mov_b32_e32 v1, 1
	s_and_saveexec_b32 s1, s0
	s_cbranch_execz .LBB6_94
; %bb.98:                               ;   in Loop: Header=BB6_97 Depth=1
	global_load_b32 v1, v[8:9], off offset:20 scope:SCOPE_SYS
	s_wait_loadcnt 0x0
	global_inv scope:SCOPE_SYS
	v_and_b32_e32 v1, 1, v1
	s_branch .LBB6_94
.LBB6_99:
	global_load_b64 v[2:3], v[2:3], off
	s_wait_xcnt 0x0
	s_and_saveexec_b32 s6, s0
	s_cbranch_execz .LBB6_103
; %bb.100:
	v_mov_b32_e32 v1, 0
	s_clause 0x2
	global_load_b64 v[4:5], v1, s[2:3] offset:40
	global_load_b64 v[12:13], v1, s[2:3] offset:24 scope:SCOPE_SYS
	global_load_b64 v[6:7], v1, s[2:3]
	s_wait_loadcnt 0x2
	v_readfirstlane_b32 s8, v4
	v_readfirstlane_b32 s9, v5
	s_add_nc_u64 s[0:1], s[8:9], 1
	s_delay_alu instid0(SALU_CYCLE_1) | instskip(NEXT) | instid1(SALU_CYCLE_1)
	s_add_nc_u64 s[4:5], s[0:1], s[4:5]
	s_cmp_eq_u64 s[4:5], 0
	s_cselect_b32 s1, s1, s5
	s_cselect_b32 s0, s0, s4
	v_mov_b32_e32 v11, s1
	s_and_b64 s[4:5], s[0:1], s[8:9]
	v_mov_b32_e32 v10, s0
	s_mul_u64 s[4:5], s[4:5], 24
	s_wait_loadcnt 0x0
	v_add_nc_u64_e32 v[8:9], s[4:5], v[6:7]
	global_store_b64 v[8:9], v[12:13], off
	global_wb scope:SCOPE_SYS
	s_wait_storecnt 0x0
	s_wait_xcnt 0x0
	global_atomic_cmpswap_b64 v[6:7], v1, v[10:13], s[2:3] offset:24 th:TH_ATOMIC_RETURN scope:SCOPE_SYS
	s_wait_loadcnt 0x0
	v_cmp_ne_u64_e32 vcc_lo, v[6:7], v[12:13]
	s_and_b32 exec_lo, exec_lo, vcc_lo
	s_cbranch_execz .LBB6_103
; %bb.101:
	s_mov_b32 s4, 0
.LBB6_102:                              ; =>This Inner Loop Header: Depth=1
	v_dual_mov_b32 v4, s0 :: v_dual_mov_b32 v5, s1
	s_sleep 1
	global_store_b64 v[8:9], v[6:7], off
	global_wb scope:SCOPE_SYS
	s_wait_storecnt 0x0
	s_wait_xcnt 0x0
	global_atomic_cmpswap_b64 v[4:5], v1, v[4:7], s[2:3] offset:24 th:TH_ATOMIC_RETURN scope:SCOPE_SYS
	s_wait_loadcnt 0x0
	v_cmp_eq_u64_e32 vcc_lo, v[4:5], v[6:7]
	v_mov_b64_e32 v[6:7], v[4:5]
	s_or_b32 s4, vcc_lo, s4
	s_delay_alu instid0(SALU_CYCLE_1)
	s_and_not1_b32 exec_lo, exec_lo, s4
	s_cbranch_execnz .LBB6_102
.LBB6_103:
	s_or_b32 exec_lo, exec_lo, s6
	s_get_pc_i64 s[4:5]
	s_add_nc_u64 s[4:5], s[4:5], .str.28@rel64+4
	s_delay_alu instid0(SALU_CYCLE_1)
	s_cmp_lg_u64 s[4:5], 0
	s_cbranch_scc0 .LBB6_182
; %bb.104:
	v_mov_b64_e32 v[6:7], 0x100000002
	s_wait_loadcnt 0x0
	v_dual_mov_b32 v9, v3 :: v_dual_bitop2_b32 v8, -3, v2 bitop3:0x40
	v_mov_b32_e32 v5, 0
	s_mov_b64 s[6:7], 35
	s_branch .LBB6_106
.LBB6_105:                              ;   in Loop: Header=BB6_106 Depth=1
	s_or_b32 exec_lo, exec_lo, s12
	s_sub_nc_u64 s[6:7], s[6:7], s[8:9]
	s_add_nc_u64 s[4:5], s[4:5], s[8:9]
	s_cmp_lg_u64 s[6:7], 0
	s_cbranch_scc0 .LBB6_181
.LBB6_106:                              ; =>This Loop Header: Depth=1
                                        ;     Child Loop BB6_109 Depth 2
                                        ;     Child Loop BB6_116 Depth 2
	;; [unrolled: 1-line block ×11, first 2 shown]
	s_wait_loadcnt 0x0
	v_min_u64 v[10:11], s[6:7], 56
	v_cmp_gt_u64_e64 s0, s[6:7], 7
	s_and_b32 vcc_lo, exec_lo, s0
	v_readfirstlane_b32 s8, v10
	v_readfirstlane_b32 s9, v11
	s_cbranch_vccnz .LBB6_111
; %bb.107:                              ;   in Loop: Header=BB6_106 Depth=1
	v_mov_b64_e32 v[10:11], 0
	s_cmp_eq_u64 s[6:7], 0
	s_cbranch_scc1 .LBB6_110
; %bb.108:                              ;   in Loop: Header=BB6_106 Depth=1
	s_mov_b64 s[0:1], 0
	s_mov_b64 s[10:11], 0
.LBB6_109:                              ;   Parent Loop BB6_106 Depth=1
                                        ; =>  This Inner Loop Header: Depth=2
	s_wait_xcnt 0x0
	s_add_nc_u64 s[12:13], s[4:5], s[10:11]
	s_add_nc_u64 s[10:11], s[10:11], 1
	global_load_u8 v1, v5, s[12:13]
	s_cmp_lg_u32 s8, s10
	s_wait_loadcnt 0x0
	v_and_b32_e32 v4, 0xffff, v1
	s_delay_alu instid0(VALU_DEP_1) | instskip(SKIP_1) | instid1(VALU_DEP_1)
	v_lshlrev_b64_e32 v[12:13], s0, v[4:5]
	s_add_nc_u64 s[0:1], s[0:1], 8
	v_or_b32_e32 v10, v12, v10
	s_delay_alu instid0(VALU_DEP_2)
	v_or_b32_e32 v11, v13, v11
	s_cbranch_scc1 .LBB6_109
.LBB6_110:                              ;   in Loop: Header=BB6_106 Depth=1
	s_mov_b64 s[10:11], s[4:5]
	s_mov_b32 s14, 0
	s_cbranch_execz .LBB6_112
	s_branch .LBB6_113
.LBB6_111:                              ;   in Loop: Header=BB6_106 Depth=1
	s_add_nc_u64 s[10:11], s[4:5], 8
	s_mov_b32 s14, 0
.LBB6_112:                              ;   in Loop: Header=BB6_106 Depth=1
	global_load_b64 v[10:11], v5, s[4:5]
	s_add_co_i32 s14, s8, -8
.LBB6_113:                              ;   in Loop: Header=BB6_106 Depth=1
	s_delay_alu instid0(SALU_CYCLE_1)
	s_cmp_gt_u32 s14, 7
	s_cbranch_scc1 .LBB6_118
; %bb.114:                              ;   in Loop: Header=BB6_106 Depth=1
	v_mov_b64_e32 v[12:13], 0
	s_cmp_eq_u32 s14, 0
	s_cbranch_scc1 .LBB6_117
; %bb.115:                              ;   in Loop: Header=BB6_106 Depth=1
	s_mov_b64 s[0:1], 0
	s_wait_xcnt 0x0
	s_mov_b64 s[12:13], 0
.LBB6_116:                              ;   Parent Loop BB6_106 Depth=1
                                        ; =>  This Inner Loop Header: Depth=2
	s_wait_xcnt 0x0
	s_add_nc_u64 s[24:25], s[10:11], s[12:13]
	s_add_nc_u64 s[12:13], s[12:13], 1
	global_load_u8 v1, v5, s[24:25]
	s_cmp_lg_u32 s14, s12
	s_wait_loadcnt 0x0
	v_and_b32_e32 v4, 0xffff, v1
	s_delay_alu instid0(VALU_DEP_1) | instskip(SKIP_1) | instid1(VALU_DEP_1)
	v_lshlrev_b64_e32 v[14:15], s0, v[4:5]
	s_add_nc_u64 s[0:1], s[0:1], 8
	v_or_b32_e32 v12, v14, v12
	s_delay_alu instid0(VALU_DEP_2)
	v_or_b32_e32 v13, v15, v13
	s_cbranch_scc1 .LBB6_116
.LBB6_117:                              ;   in Loop: Header=BB6_106 Depth=1
	s_wait_xcnt 0x0
	s_mov_b64 s[0:1], s[10:11]
	s_mov_b32 s15, 0
	s_cbranch_execz .LBB6_119
	s_branch .LBB6_120
.LBB6_118:                              ;   in Loop: Header=BB6_106 Depth=1
	s_add_nc_u64 s[0:1], s[10:11], 8
	s_wait_xcnt 0x0
                                        ; implicit-def: $vgpr12_vgpr13
	s_mov_b32 s15, 0
.LBB6_119:                              ;   in Loop: Header=BB6_106 Depth=1
	global_load_b64 v[12:13], v5, s[10:11]
	s_add_co_i32 s15, s14, -8
.LBB6_120:                              ;   in Loop: Header=BB6_106 Depth=1
	s_delay_alu instid0(SALU_CYCLE_1)
	s_cmp_gt_u32 s15, 7
	s_cbranch_scc1 .LBB6_125
; %bb.121:                              ;   in Loop: Header=BB6_106 Depth=1
	v_mov_b64_e32 v[14:15], 0
	s_cmp_eq_u32 s15, 0
	s_cbranch_scc1 .LBB6_124
; %bb.122:                              ;   in Loop: Header=BB6_106 Depth=1
	s_wait_xcnt 0x0
	s_mov_b64 s[10:11], 0
	s_mov_b64 s[12:13], 0
.LBB6_123:                              ;   Parent Loop BB6_106 Depth=1
                                        ; =>  This Inner Loop Header: Depth=2
	s_wait_xcnt 0x0
	s_add_nc_u64 s[24:25], s[0:1], s[12:13]
	s_add_nc_u64 s[12:13], s[12:13], 1
	global_load_u8 v1, v5, s[24:25]
	s_cmp_lg_u32 s15, s12
	s_wait_loadcnt 0x0
	v_and_b32_e32 v4, 0xffff, v1
	s_delay_alu instid0(VALU_DEP_1) | instskip(SKIP_1) | instid1(VALU_DEP_1)
	v_lshlrev_b64_e32 v[16:17], s10, v[4:5]
	s_add_nc_u64 s[10:11], s[10:11], 8
	v_or_b32_e32 v14, v16, v14
	s_delay_alu instid0(VALU_DEP_2)
	v_or_b32_e32 v15, v17, v15
	s_cbranch_scc1 .LBB6_123
.LBB6_124:                              ;   in Loop: Header=BB6_106 Depth=1
	s_wait_xcnt 0x0
	s_mov_b64 s[10:11], s[0:1]
	s_mov_b32 s14, 0
	s_cbranch_execz .LBB6_126
	s_branch .LBB6_127
.LBB6_125:                              ;   in Loop: Header=BB6_106 Depth=1
	s_wait_xcnt 0x0
	s_add_nc_u64 s[10:11], s[0:1], 8
	s_mov_b32 s14, 0
.LBB6_126:                              ;   in Loop: Header=BB6_106 Depth=1
	global_load_b64 v[14:15], v5, s[0:1]
	s_add_co_i32 s14, s15, -8
.LBB6_127:                              ;   in Loop: Header=BB6_106 Depth=1
	s_delay_alu instid0(SALU_CYCLE_1)
	s_cmp_gt_u32 s14, 7
	s_cbranch_scc1 .LBB6_132
; %bb.128:                              ;   in Loop: Header=BB6_106 Depth=1
	v_mov_b64_e32 v[16:17], 0
	s_cmp_eq_u32 s14, 0
	s_cbranch_scc1 .LBB6_131
; %bb.129:                              ;   in Loop: Header=BB6_106 Depth=1
	s_wait_xcnt 0x0
	s_mov_b64 s[0:1], 0
	s_mov_b64 s[12:13], 0
.LBB6_130:                              ;   Parent Loop BB6_106 Depth=1
                                        ; =>  This Inner Loop Header: Depth=2
	s_wait_xcnt 0x0
	s_add_nc_u64 s[24:25], s[10:11], s[12:13]
	s_add_nc_u64 s[12:13], s[12:13], 1
	global_load_u8 v1, v5, s[24:25]
	s_cmp_lg_u32 s14, s12
	s_wait_loadcnt 0x0
	v_and_b32_e32 v4, 0xffff, v1
	s_delay_alu instid0(VALU_DEP_1) | instskip(SKIP_1) | instid1(VALU_DEP_1)
	v_lshlrev_b64_e32 v[18:19], s0, v[4:5]
	s_add_nc_u64 s[0:1], s[0:1], 8
	v_or_b32_e32 v16, v18, v16
	s_delay_alu instid0(VALU_DEP_2)
	v_or_b32_e32 v17, v19, v17
	s_cbranch_scc1 .LBB6_130
.LBB6_131:                              ;   in Loop: Header=BB6_106 Depth=1
	s_wait_xcnt 0x0
	s_mov_b64 s[0:1], s[10:11]
	s_mov_b32 s15, 0
	s_cbranch_execz .LBB6_133
	s_branch .LBB6_134
.LBB6_132:                              ;   in Loop: Header=BB6_106 Depth=1
	s_wait_xcnt 0x0
	s_add_nc_u64 s[0:1], s[10:11], 8
                                        ; implicit-def: $vgpr16_vgpr17
	s_mov_b32 s15, 0
.LBB6_133:                              ;   in Loop: Header=BB6_106 Depth=1
	global_load_b64 v[16:17], v5, s[10:11]
	s_add_co_i32 s15, s14, -8
.LBB6_134:                              ;   in Loop: Header=BB6_106 Depth=1
	s_delay_alu instid0(SALU_CYCLE_1)
	s_cmp_gt_u32 s15, 7
	s_cbranch_scc1 .LBB6_139
; %bb.135:                              ;   in Loop: Header=BB6_106 Depth=1
	v_mov_b64_e32 v[18:19], 0
	s_cmp_eq_u32 s15, 0
	s_cbranch_scc1 .LBB6_138
; %bb.136:                              ;   in Loop: Header=BB6_106 Depth=1
	s_wait_xcnt 0x0
	s_mov_b64 s[10:11], 0
	s_mov_b64 s[12:13], 0
.LBB6_137:                              ;   Parent Loop BB6_106 Depth=1
                                        ; =>  This Inner Loop Header: Depth=2
	s_wait_xcnt 0x0
	s_add_nc_u64 s[24:25], s[0:1], s[12:13]
	s_add_nc_u64 s[12:13], s[12:13], 1
	global_load_u8 v1, v5, s[24:25]
	s_cmp_lg_u32 s15, s12
	s_wait_loadcnt 0x0
	v_and_b32_e32 v4, 0xffff, v1
	s_delay_alu instid0(VALU_DEP_1) | instskip(SKIP_1) | instid1(VALU_DEP_1)
	v_lshlrev_b64_e32 v[20:21], s10, v[4:5]
	s_add_nc_u64 s[10:11], s[10:11], 8
	v_or_b32_e32 v18, v20, v18
	s_delay_alu instid0(VALU_DEP_2)
	v_or_b32_e32 v19, v21, v19
	s_cbranch_scc1 .LBB6_137
.LBB6_138:                              ;   in Loop: Header=BB6_106 Depth=1
	s_wait_xcnt 0x0
	s_mov_b64 s[10:11], s[0:1]
	s_mov_b32 s14, 0
	s_cbranch_execz .LBB6_140
	s_branch .LBB6_141
.LBB6_139:                              ;   in Loop: Header=BB6_106 Depth=1
	s_wait_xcnt 0x0
	s_add_nc_u64 s[10:11], s[0:1], 8
	s_mov_b32 s14, 0
.LBB6_140:                              ;   in Loop: Header=BB6_106 Depth=1
	global_load_b64 v[18:19], v5, s[0:1]
	s_add_co_i32 s14, s15, -8
.LBB6_141:                              ;   in Loop: Header=BB6_106 Depth=1
	s_delay_alu instid0(SALU_CYCLE_1)
	s_cmp_gt_u32 s14, 7
	s_cbranch_scc1 .LBB6_146
; %bb.142:                              ;   in Loop: Header=BB6_106 Depth=1
	v_mov_b64_e32 v[20:21], 0
	s_cmp_eq_u32 s14, 0
	s_cbranch_scc1 .LBB6_145
; %bb.143:                              ;   in Loop: Header=BB6_106 Depth=1
	s_wait_xcnt 0x0
	s_mov_b64 s[0:1], 0
	s_mov_b64 s[12:13], 0
.LBB6_144:                              ;   Parent Loop BB6_106 Depth=1
                                        ; =>  This Inner Loop Header: Depth=2
	s_wait_xcnt 0x0
	s_add_nc_u64 s[24:25], s[10:11], s[12:13]
	s_add_nc_u64 s[12:13], s[12:13], 1
	global_load_u8 v1, v5, s[24:25]
	s_cmp_lg_u32 s14, s12
	s_wait_loadcnt 0x0
	v_and_b32_e32 v4, 0xffff, v1
	s_delay_alu instid0(VALU_DEP_1) | instskip(SKIP_1) | instid1(VALU_DEP_1)
	v_lshlrev_b64_e32 v[22:23], s0, v[4:5]
	s_add_nc_u64 s[0:1], s[0:1], 8
	v_or_b32_e32 v20, v22, v20
	s_delay_alu instid0(VALU_DEP_2)
	v_or_b32_e32 v21, v23, v21
	s_cbranch_scc1 .LBB6_144
.LBB6_145:                              ;   in Loop: Header=BB6_106 Depth=1
	s_wait_xcnt 0x0
	s_mov_b64 s[0:1], s[10:11]
	s_mov_b32 s15, 0
	s_cbranch_execz .LBB6_147
	s_branch .LBB6_148
.LBB6_146:                              ;   in Loop: Header=BB6_106 Depth=1
	s_wait_xcnt 0x0
	s_add_nc_u64 s[0:1], s[10:11], 8
                                        ; implicit-def: $vgpr20_vgpr21
	s_mov_b32 s15, 0
.LBB6_147:                              ;   in Loop: Header=BB6_106 Depth=1
	global_load_b64 v[20:21], v5, s[10:11]
	s_add_co_i32 s15, s14, -8
.LBB6_148:                              ;   in Loop: Header=BB6_106 Depth=1
	s_delay_alu instid0(SALU_CYCLE_1)
	s_cmp_gt_u32 s15, 7
	s_cbranch_scc1 .LBB6_153
; %bb.149:                              ;   in Loop: Header=BB6_106 Depth=1
	v_mov_b64_e32 v[22:23], 0
	s_cmp_eq_u32 s15, 0
	s_cbranch_scc1 .LBB6_152
; %bb.150:                              ;   in Loop: Header=BB6_106 Depth=1
	s_wait_xcnt 0x0
	s_mov_b64 s[10:11], 0
	s_mov_b64 s[12:13], s[0:1]
.LBB6_151:                              ;   Parent Loop BB6_106 Depth=1
                                        ; =>  This Inner Loop Header: Depth=2
	global_load_u8 v1, v5, s[12:13]
	s_add_co_i32 s15, s15, -1
	s_wait_xcnt 0x0
	s_add_nc_u64 s[12:13], s[12:13], 1
	s_cmp_lg_u32 s15, 0
	s_wait_loadcnt 0x0
	v_and_b32_e32 v4, 0xffff, v1
	s_delay_alu instid0(VALU_DEP_1) | instskip(SKIP_1) | instid1(VALU_DEP_1)
	v_lshlrev_b64_e32 v[24:25], s10, v[4:5]
	s_add_nc_u64 s[10:11], s[10:11], 8
	v_or_b32_e32 v22, v24, v22
	s_delay_alu instid0(VALU_DEP_2)
	v_or_b32_e32 v23, v25, v23
	s_cbranch_scc1 .LBB6_151
.LBB6_152:                              ;   in Loop: Header=BB6_106 Depth=1
	s_wait_xcnt 0x0
	s_cbranch_execz .LBB6_154
	s_branch .LBB6_155
.LBB6_153:                              ;   in Loop: Header=BB6_106 Depth=1
	s_wait_xcnt 0x0
.LBB6_154:                              ;   in Loop: Header=BB6_106 Depth=1
	global_load_b64 v[22:23], v5, s[0:1]
.LBB6_155:                              ;   in Loop: Header=BB6_106 Depth=1
	s_wait_xcnt 0x0
	v_readfirstlane_b32 s0, v32
	v_mov_b64_e32 v[28:29], 0
	s_delay_alu instid0(VALU_DEP_2)
	v_cmp_eq_u32_e64 s0, s0, v32
	s_and_saveexec_b32 s1, s0
	s_cbranch_execz .LBB6_161
; %bb.156:                              ;   in Loop: Header=BB6_106 Depth=1
	global_load_b64 v[26:27], v5, s[2:3] offset:24 scope:SCOPE_SYS
	s_wait_loadcnt 0x0
	global_inv scope:SCOPE_SYS
	s_clause 0x1
	global_load_b64 v[24:25], v5, s[2:3] offset:40
	global_load_b64 v[28:29], v5, s[2:3]
	s_mov_b32 s10, exec_lo
	s_wait_loadcnt 0x1
	v_and_b32_e32 v24, v24, v26
	v_and_b32_e32 v25, v25, v27
	s_delay_alu instid0(VALU_DEP_1) | instskip(SKIP_1) | instid1(VALU_DEP_1)
	v_mul_u64_e32 v[24:25], 24, v[24:25]
	s_wait_loadcnt 0x0
	v_add_nc_u64_e32 v[24:25], v[28:29], v[24:25]
	global_load_b64 v[24:25], v[24:25], off scope:SCOPE_SYS
	s_wait_xcnt 0x0
	s_wait_loadcnt 0x0
	global_atomic_cmpswap_b64 v[28:29], v5, v[24:27], s[2:3] offset:24 th:TH_ATOMIC_RETURN scope:SCOPE_SYS
	s_wait_loadcnt 0x0
	global_inv scope:SCOPE_SYS
	s_wait_xcnt 0x0
	v_cmpx_ne_u64_e64 v[28:29], v[26:27]
	s_cbranch_execz .LBB6_160
; %bb.157:                              ;   in Loop: Header=BB6_106 Depth=1
	s_mov_b32 s11, 0
.LBB6_158:                              ;   Parent Loop BB6_106 Depth=1
                                        ; =>  This Inner Loop Header: Depth=2
	s_sleep 1
	s_clause 0x1
	global_load_b64 v[24:25], v5, s[2:3] offset:40
	global_load_b64 v[30:31], v5, s[2:3]
	v_mov_b64_e32 v[26:27], v[28:29]
	s_wait_loadcnt 0x1
	s_delay_alu instid0(VALU_DEP_1) | instskip(SKIP_1) | instid1(VALU_DEP_1)
	v_and_b32_e32 v1, v24, v26
	s_wait_loadcnt 0x0
	v_mad_nc_u64_u32 v[28:29], v1, 24, v[30:31]
	s_delay_alu instid0(VALU_DEP_3) | instskip(NEXT) | instid1(VALU_DEP_1)
	v_and_b32_e32 v1, v25, v27
	v_mad_u32 v29, v1, 24, v29
	global_load_b64 v[24:25], v[28:29], off scope:SCOPE_SYS
	s_wait_xcnt 0x0
	s_wait_loadcnt 0x0
	global_atomic_cmpswap_b64 v[28:29], v5, v[24:27], s[2:3] offset:24 th:TH_ATOMIC_RETURN scope:SCOPE_SYS
	s_wait_loadcnt 0x0
	global_inv scope:SCOPE_SYS
	v_cmp_eq_u64_e32 vcc_lo, v[28:29], v[26:27]
	s_or_b32 s11, vcc_lo, s11
	s_wait_xcnt 0x0
	s_and_not1_b32 exec_lo, exec_lo, s11
	s_cbranch_execnz .LBB6_158
; %bb.159:                              ;   in Loop: Header=BB6_106 Depth=1
	s_or_b32 exec_lo, exec_lo, s11
.LBB6_160:                              ;   in Loop: Header=BB6_106 Depth=1
	s_delay_alu instid0(SALU_CYCLE_1)
	s_or_b32 exec_lo, exec_lo, s10
.LBB6_161:                              ;   in Loop: Header=BB6_106 Depth=1
	s_delay_alu instid0(SALU_CYCLE_1)
	s_or_b32 exec_lo, exec_lo, s1
	s_clause 0x1
	global_load_b64 v[30:31], v5, s[2:3] offset:40
	global_load_b128 v[24:27], v5, s[2:3]
	v_readfirstlane_b32 s10, v28
	v_readfirstlane_b32 s11, v29
	s_mov_b32 s1, exec_lo
	s_wait_loadcnt 0x1
	v_and_b32_e32 v30, s10, v30
	v_and_b32_e32 v31, s11, v31
	s_delay_alu instid0(VALU_DEP_1) | instskip(SKIP_1) | instid1(VALU_DEP_1)
	v_mul_u64_e32 v[28:29], 24, v[30:31]
	s_wait_loadcnt 0x0
	v_add_nc_u64_e32 v[28:29], v[24:25], v[28:29]
	s_wait_xcnt 0x0
	s_and_saveexec_b32 s12, s0
	s_cbranch_execz .LBB6_163
; %bb.162:                              ;   in Loop: Header=BB6_106 Depth=1
	v_mov_b32_e32 v4, s1
	global_store_b128 v[28:29], v[4:7], off offset:8
.LBB6_163:                              ;   in Loop: Header=BB6_106 Depth=1
	s_wait_xcnt 0x0
	s_or_b32 exec_lo, exec_lo, s12
	v_cmp_gt_u64_e64 s1, s[6:7], 56
	v_lshlrev_b64_e32 v[30:31], 12, v[30:31]
	v_and_b32_e32 v1, 0xffffff1f, v8
	s_and_b32 s1, s1, exec_lo
	s_delay_alu instid0(VALU_DEP_2) | instskip(SKIP_4) | instid1(VALU_DEP_2)
	v_add_nc_u64_e32 v[26:27], v[26:27], v[30:31]
	s_cselect_b32 s1, 0, 2
	s_lshl_b32 s12, s8, 2
	v_or_b32_e32 v1, s1, v1
	s_add_co_i32 s1, s12, 28
	v_readfirstlane_b32 s12, v26
	s_delay_alu instid0(VALU_DEP_3) | instskip(NEXT) | instid1(VALU_DEP_3)
	v_readfirstlane_b32 s13, v27
	v_and_or_b32 v8, 0x1e0, s1, v1
	s_clause 0x3
	global_store_b128 v0, v[8:11], s[12:13]
	global_store_b128 v0, v[12:15], s[12:13] offset:16
	global_store_b128 v0, v[16:19], s[12:13] offset:32
	;; [unrolled: 1-line block ×3, first 2 shown]
	s_wait_xcnt 0x0
	s_and_saveexec_b32 s1, s0
	s_cbranch_execz .LBB6_171
; %bb.164:                              ;   in Loop: Header=BB6_106 Depth=1
	s_clause 0x1
	global_load_b64 v[16:17], v5, s[2:3] offset:32 scope:SCOPE_SYS
	global_load_b64 v[8:9], v5, s[2:3] offset:40
	s_mov_b32 s12, exec_lo
	v_dual_mov_b32 v14, s10 :: v_dual_mov_b32 v15, s11
	s_wait_loadcnt 0x0
	v_and_b32_e32 v9, s11, v9
	v_and_b32_e32 v8, s10, v8
	s_delay_alu instid0(VALU_DEP_1) | instskip(NEXT) | instid1(VALU_DEP_1)
	v_mul_u64_e32 v[8:9], 24, v[8:9]
	v_add_nc_u64_e32 v[12:13], v[24:25], v[8:9]
	global_store_b64 v[12:13], v[16:17], off
	global_wb scope:SCOPE_SYS
	s_wait_storecnt 0x0
	s_wait_xcnt 0x0
	global_atomic_cmpswap_b64 v[10:11], v5, v[14:17], s[2:3] offset:32 th:TH_ATOMIC_RETURN scope:SCOPE_SYS
	s_wait_loadcnt 0x0
	v_cmpx_ne_u64_e64 v[10:11], v[16:17]
	s_cbranch_execz .LBB6_167
; %bb.165:                              ;   in Loop: Header=BB6_106 Depth=1
	s_mov_b32 s13, 0
.LBB6_166:                              ;   Parent Loop BB6_106 Depth=1
                                        ; =>  This Inner Loop Header: Depth=2
	v_dual_mov_b32 v8, s10 :: v_dual_mov_b32 v9, s11
	s_sleep 1
	global_store_b64 v[12:13], v[10:11], off
	global_wb scope:SCOPE_SYS
	s_wait_storecnt 0x0
	s_wait_xcnt 0x0
	global_atomic_cmpswap_b64 v[8:9], v5, v[8:11], s[2:3] offset:32 th:TH_ATOMIC_RETURN scope:SCOPE_SYS
	s_wait_loadcnt 0x0
	v_cmp_eq_u64_e32 vcc_lo, v[8:9], v[10:11]
	v_mov_b64_e32 v[10:11], v[8:9]
	s_or_b32 s13, vcc_lo, s13
	s_delay_alu instid0(SALU_CYCLE_1)
	s_and_not1_b32 exec_lo, exec_lo, s13
	s_cbranch_execnz .LBB6_166
.LBB6_167:                              ;   in Loop: Header=BB6_106 Depth=1
	s_or_b32 exec_lo, exec_lo, s12
	global_load_b64 v[8:9], v5, s[2:3] offset:16
	s_mov_b32 s13, exec_lo
	s_mov_b32 s12, exec_lo
	v_mbcnt_lo_u32_b32 v1, s13, 0
	s_wait_xcnt 0x0
	s_delay_alu instid0(VALU_DEP_1)
	v_cmpx_eq_u32_e32 0, v1
	s_cbranch_execz .LBB6_169
; %bb.168:                              ;   in Loop: Header=BB6_106 Depth=1
	s_bcnt1_i32_b32 s13, s13
	s_delay_alu instid0(SALU_CYCLE_1)
	v_mov_b32_e32 v4, s13
	global_wb scope:SCOPE_SYS
	s_wait_loadcnt 0x0
	s_wait_storecnt 0x0
	global_atomic_add_u64 v[8:9], v[4:5], off offset:8 scope:SCOPE_SYS
.LBB6_169:                              ;   in Loop: Header=BB6_106 Depth=1
	s_wait_xcnt 0x0
	s_or_b32 exec_lo, exec_lo, s12
	s_wait_loadcnt 0x0
	global_load_b64 v[10:11], v[8:9], off offset:16
	s_wait_loadcnt 0x0
	v_cmp_eq_u64_e32 vcc_lo, 0, v[10:11]
	s_cbranch_vccnz .LBB6_171
; %bb.170:                              ;   in Loop: Header=BB6_106 Depth=1
	global_load_b32 v4, v[8:9], off offset:24
	s_wait_loadcnt 0x0
	v_readfirstlane_b32 s12, v4
	global_wb scope:SCOPE_SYS
	s_wait_storecnt 0x0
	s_wait_xcnt 0x0
	global_store_b64 v[10:11], v[4:5], off scope:SCOPE_SYS
	s_and_b32 m0, s12, 0xffffff
	s_sendmsg sendmsg(MSG_INTERRUPT)
.LBB6_171:                              ;   in Loop: Header=BB6_106 Depth=1
	s_wait_xcnt 0x0
	s_or_b32 exec_lo, exec_lo, s1
	v_mov_b32_e32 v1, v5
	s_delay_alu instid0(VALU_DEP_1)
	v_add_nc_u64_e32 v[8:9], v[26:27], v[0:1]
	s_branch .LBB6_175
.LBB6_172:                              ;   in Loop: Header=BB6_175 Depth=2
	s_wait_xcnt 0x0
	s_or_b32 exec_lo, exec_lo, s1
	s_delay_alu instid0(VALU_DEP_1)
	v_readfirstlane_b32 s1, v1
	s_cmp_eq_u32 s1, 0
	s_cbranch_scc1 .LBB6_174
; %bb.173:                              ;   in Loop: Header=BB6_175 Depth=2
	s_sleep 1
	s_cbranch_execnz .LBB6_175
	s_branch .LBB6_177
.LBB6_174:                              ;   in Loop: Header=BB6_106 Depth=1
	s_branch .LBB6_177
.LBB6_175:                              ;   Parent Loop BB6_106 Depth=1
                                        ; =>  This Inner Loop Header: Depth=2
	v_mov_b32_e32 v1, 1
	s_and_saveexec_b32 s1, s0
	s_cbranch_execz .LBB6_172
; %bb.176:                              ;   in Loop: Header=BB6_175 Depth=2
	global_load_b32 v1, v[28:29], off offset:20 scope:SCOPE_SYS
	s_wait_loadcnt 0x0
	global_inv scope:SCOPE_SYS
	v_and_b32_e32 v1, 1, v1
	s_branch .LBB6_172
.LBB6_177:                              ;   in Loop: Header=BB6_106 Depth=1
	global_load_b128 v[8:11], v[8:9], off
	s_wait_xcnt 0x0
	s_and_saveexec_b32 s12, s0
	s_cbranch_execz .LBB6_105
; %bb.178:                              ;   in Loop: Header=BB6_106 Depth=1
	s_wait_loadcnt 0x0
	s_clause 0x2
	global_load_b64 v[10:11], v5, s[2:3] offset:40
	global_load_b64 v[18:19], v5, s[2:3] offset:24 scope:SCOPE_SYS
	global_load_b64 v[12:13], v5, s[2:3]
	s_wait_loadcnt 0x2
	v_readfirstlane_b32 s14, v10
	v_readfirstlane_b32 s15, v11
	s_add_nc_u64 s[0:1], s[14:15], 1
	s_delay_alu instid0(SALU_CYCLE_1) | instskip(NEXT) | instid1(SALU_CYCLE_1)
	s_add_nc_u64 s[10:11], s[0:1], s[10:11]
	s_cmp_eq_u64 s[10:11], 0
	s_cselect_b32 s1, s1, s11
	s_cselect_b32 s0, s0, s10
	s_delay_alu instid0(SALU_CYCLE_1) | instskip(SKIP_1) | instid1(SALU_CYCLE_1)
	v_dual_mov_b32 v17, s1 :: v_dual_mov_b32 v16, s0
	s_and_b64 s[10:11], s[0:1], s[14:15]
	s_mul_u64 s[10:11], s[10:11], 24
	s_wait_loadcnt 0x0
	v_add_nc_u64_e32 v[14:15], s[10:11], v[12:13]
	global_store_b64 v[14:15], v[18:19], off
	global_wb scope:SCOPE_SYS
	s_wait_storecnt 0x0
	s_wait_xcnt 0x0
	global_atomic_cmpswap_b64 v[12:13], v5, v[16:19], s[2:3] offset:24 th:TH_ATOMIC_RETURN scope:SCOPE_SYS
	s_wait_loadcnt 0x0
	v_cmp_ne_u64_e32 vcc_lo, v[12:13], v[18:19]
	s_and_b32 exec_lo, exec_lo, vcc_lo
	s_cbranch_execz .LBB6_105
; %bb.179:                              ;   in Loop: Header=BB6_106 Depth=1
	s_mov_b32 s10, 0
.LBB6_180:                              ;   Parent Loop BB6_106 Depth=1
                                        ; =>  This Inner Loop Header: Depth=2
	v_dual_mov_b32 v10, s0 :: v_dual_mov_b32 v11, s1
	s_sleep 1
	global_store_b64 v[14:15], v[12:13], off
	global_wb scope:SCOPE_SYS
	s_wait_storecnt 0x0
	s_wait_xcnt 0x0
	global_atomic_cmpswap_b64 v[10:11], v5, v[10:13], s[2:3] offset:24 th:TH_ATOMIC_RETURN scope:SCOPE_SYS
	s_wait_loadcnt 0x0
	v_cmp_eq_u64_e32 vcc_lo, v[10:11], v[12:13]
	v_mov_b64_e32 v[12:13], v[10:11]
	s_or_b32 s10, vcc_lo, s10
	s_delay_alu instid0(SALU_CYCLE_1)
	s_and_not1_b32 exec_lo, exec_lo, s10
	s_cbranch_execnz .LBB6_180
	s_branch .LBB6_105
.LBB6_181:
	s_mov_b32 s0, 0
	s_branch .LBB6_183
.LBB6_182:
	s_mov_b32 s0, -1
.LBB6_183:
	s_delay_alu instid0(SALU_CYCLE_1)
	s_and_b32 vcc_lo, exec_lo, s0
	s_cbranch_vccz .LBB6_211
; %bb.184:
	v_readfirstlane_b32 s0, v32
	s_wait_loadcnt 0x0
	v_mov_b64_e32 v[10:11], 0
	s_delay_alu instid0(VALU_DEP_2)
	v_cmp_eq_u32_e64 s0, s0, v32
	s_and_saveexec_b32 s1, s0
	s_cbranch_execz .LBB6_190
; %bb.185:
	v_mov_b32_e32 v1, 0
	s_mov_b32 s4, exec_lo
	global_load_b64 v[6:7], v1, s[2:3] offset:24 scope:SCOPE_SYS
	s_wait_loadcnt 0x0
	global_inv scope:SCOPE_SYS
	s_clause 0x1
	global_load_b64 v[4:5], v1, s[2:3] offset:40
	global_load_b64 v[8:9], v1, s[2:3]
	s_wait_loadcnt 0x1
	v_and_b32_e32 v4, v4, v6
	v_and_b32_e32 v5, v5, v7
	s_delay_alu instid0(VALU_DEP_1) | instskip(SKIP_1) | instid1(VALU_DEP_1)
	v_mul_u64_e32 v[4:5], 24, v[4:5]
	s_wait_loadcnt 0x0
	v_add_nc_u64_e32 v[4:5], v[8:9], v[4:5]
	global_load_b64 v[4:5], v[4:5], off scope:SCOPE_SYS
	s_wait_xcnt 0x0
	s_wait_loadcnt 0x0
	global_atomic_cmpswap_b64 v[10:11], v1, v[4:7], s[2:3] offset:24 th:TH_ATOMIC_RETURN scope:SCOPE_SYS
	s_wait_loadcnt 0x0
	global_inv scope:SCOPE_SYS
	s_wait_xcnt 0x0
	v_cmpx_ne_u64_e64 v[10:11], v[6:7]
	s_cbranch_execz .LBB6_189
; %bb.186:
	s_mov_b32 s5, 0
.LBB6_187:                              ; =>This Inner Loop Header: Depth=1
	s_sleep 1
	s_clause 0x1
	global_load_b64 v[4:5], v1, s[2:3] offset:40
	global_load_b64 v[8:9], v1, s[2:3]
	v_mov_b64_e32 v[6:7], v[10:11]
	s_wait_loadcnt 0x1
	s_delay_alu instid0(VALU_DEP_1) | instskip(SKIP_1) | instid1(VALU_DEP_1)
	v_and_b32_e32 v4, v4, v6
	s_wait_loadcnt 0x0
	v_mad_nc_u64_u32 v[8:9], v4, 24, v[8:9]
	s_delay_alu instid0(VALU_DEP_3) | instskip(NEXT) | instid1(VALU_DEP_1)
	v_and_b32_e32 v4, v5, v7
	v_mad_u32 v9, v4, 24, v9
	global_load_b64 v[4:5], v[8:9], off scope:SCOPE_SYS
	s_wait_xcnt 0x0
	s_wait_loadcnt 0x0
	global_atomic_cmpswap_b64 v[10:11], v1, v[4:7], s[2:3] offset:24 th:TH_ATOMIC_RETURN scope:SCOPE_SYS
	s_wait_loadcnt 0x0
	global_inv scope:SCOPE_SYS
	v_cmp_eq_u64_e32 vcc_lo, v[10:11], v[6:7]
	s_or_b32 s5, vcc_lo, s5
	s_wait_xcnt 0x0
	s_and_not1_b32 exec_lo, exec_lo, s5
	s_cbranch_execnz .LBB6_187
; %bb.188:
	s_or_b32 exec_lo, exec_lo, s5
.LBB6_189:
	s_delay_alu instid0(SALU_CYCLE_1)
	s_or_b32 exec_lo, exec_lo, s4
.LBB6_190:
	s_delay_alu instid0(SALU_CYCLE_1)
	s_or_b32 exec_lo, exec_lo, s1
	v_readfirstlane_b32 s4, v10
	v_mov_b32_e32 v4, 0
	v_readfirstlane_b32 s5, v11
	s_mov_b32 s1, exec_lo
	s_clause 0x1
	global_load_b64 v[12:13], v4, s[2:3] offset:40
	global_load_b128 v[6:9], v4, s[2:3]
	s_wait_loadcnt 0x1
	v_and_b32_e32 v12, s4, v12
	v_and_b32_e32 v13, s5, v13
	s_delay_alu instid0(VALU_DEP_1) | instskip(SKIP_1) | instid1(VALU_DEP_1)
	v_mul_u64_e32 v[10:11], 24, v[12:13]
	s_wait_loadcnt 0x0
	v_add_nc_u64_e32 v[10:11], v[6:7], v[10:11]
	s_wait_xcnt 0x0
	s_and_saveexec_b32 s6, s0
	s_cbranch_execz .LBB6_192
; %bb.191:
	v_mov_b64_e32 v[16:17], 0x100000002
	v_dual_mov_b32 v14, s1 :: v_dual_mov_b32 v15, v4
	global_store_b128 v[10:11], v[14:17], off offset:8
.LBB6_192:
	s_wait_xcnt 0x0
	s_or_b32 exec_lo, exec_lo, s6
	v_lshlrev_b64_e32 v[12:13], 12, v[12:13]
	s_mov_b32 s8, 0
	v_and_or_b32 v2, 0xffffff1d, v2, 34
	s_mov_b32 s10, s8
	s_mov_b32 s11, s8
	s_mov_b32 s9, s8
	v_mov_b32_e32 v5, v4
	v_add_nc_u64_e32 v[8:9], v[8:9], v[12:13]
	v_mov_b64_e32 v[14:15], s[10:11]
	v_mov_b64_e32 v[12:13], s[8:9]
	s_delay_alu instid0(VALU_DEP_3) | instskip(NEXT) | instid1(VALU_DEP_4)
	v_readfirstlane_b32 s6, v8
	v_readfirstlane_b32 s7, v9
	s_clause 0x3
	global_store_b128 v0, v[2:5], s[6:7]
	global_store_b128 v0, v[12:15], s[6:7] offset:16
	global_store_b128 v0, v[12:15], s[6:7] offset:32
	;; [unrolled: 1-line block ×3, first 2 shown]
	s_wait_xcnt 0x0
	s_and_saveexec_b32 s1, s0
	s_cbranch_execz .LBB6_200
; %bb.193:
	v_dual_mov_b32 v8, 0 :: v_dual_mov_b32 v13, s5
	s_mov_b32 s6, exec_lo
	s_clause 0x1
	global_load_b64 v[14:15], v8, s[2:3] offset:32 scope:SCOPE_SYS
	global_load_b64 v[0:1], v8, s[2:3] offset:40
	s_wait_loadcnt 0x0
	v_dual_mov_b32 v12, s4 :: v_dual_bitop2_b32 v1, s5, v1 bitop3:0x40
	v_and_b32_e32 v0, s4, v0
	s_delay_alu instid0(VALU_DEP_1) | instskip(NEXT) | instid1(VALU_DEP_1)
	v_mul_u64_e32 v[0:1], 24, v[0:1]
	v_add_nc_u64_e32 v[4:5], v[6:7], v[0:1]
	global_store_b64 v[4:5], v[14:15], off
	global_wb scope:SCOPE_SYS
	s_wait_storecnt 0x0
	s_wait_xcnt 0x0
	global_atomic_cmpswap_b64 v[2:3], v8, v[12:15], s[2:3] offset:32 th:TH_ATOMIC_RETURN scope:SCOPE_SYS
	s_wait_loadcnt 0x0
	v_cmpx_ne_u64_e64 v[2:3], v[14:15]
	s_cbranch_execz .LBB6_196
; %bb.194:
	s_mov_b32 s7, 0
.LBB6_195:                              ; =>This Inner Loop Header: Depth=1
	v_dual_mov_b32 v0, s4 :: v_dual_mov_b32 v1, s5
	s_sleep 1
	global_store_b64 v[4:5], v[2:3], off
	global_wb scope:SCOPE_SYS
	s_wait_storecnt 0x0
	s_wait_xcnt 0x0
	global_atomic_cmpswap_b64 v[0:1], v8, v[0:3], s[2:3] offset:32 th:TH_ATOMIC_RETURN scope:SCOPE_SYS
	s_wait_loadcnt 0x0
	v_cmp_eq_u64_e32 vcc_lo, v[0:1], v[2:3]
	v_mov_b64_e32 v[2:3], v[0:1]
	s_or_b32 s7, vcc_lo, s7
	s_delay_alu instid0(SALU_CYCLE_1)
	s_and_not1_b32 exec_lo, exec_lo, s7
	s_cbranch_execnz .LBB6_195
.LBB6_196:
	s_or_b32 exec_lo, exec_lo, s6
	v_mov_b32_e32 v3, 0
	s_mov_b32 s7, exec_lo
	s_mov_b32 s6, exec_lo
	v_mbcnt_lo_u32_b32 v2, s7, 0
	global_load_b64 v[0:1], v3, s[2:3] offset:16
	s_wait_xcnt 0x0
	v_cmpx_eq_u32_e32 0, v2
	s_cbranch_execz .LBB6_198
; %bb.197:
	s_bcnt1_i32_b32 s7, s7
	s_delay_alu instid0(SALU_CYCLE_1)
	v_mov_b32_e32 v2, s7
	global_wb scope:SCOPE_SYS
	s_wait_loadcnt 0x0
	s_wait_storecnt 0x0
	global_atomic_add_u64 v[0:1], v[2:3], off offset:8 scope:SCOPE_SYS
.LBB6_198:
	s_wait_xcnt 0x0
	s_or_b32 exec_lo, exec_lo, s6
	s_wait_loadcnt 0x0
	global_load_b64 v[2:3], v[0:1], off offset:16
	s_wait_loadcnt 0x0
	v_cmp_eq_u64_e32 vcc_lo, 0, v[2:3]
	s_cbranch_vccnz .LBB6_200
; %bb.199:
	global_load_b32 v0, v[0:1], off offset:24
	s_wait_xcnt 0x0
	v_mov_b32_e32 v1, 0
	s_wait_loadcnt 0x0
	v_readfirstlane_b32 s6, v0
	global_wb scope:SCOPE_SYS
	s_wait_storecnt 0x0
	global_store_b64 v[2:3], v[0:1], off scope:SCOPE_SYS
	s_and_b32 m0, s6, 0xffffff
	s_sendmsg sendmsg(MSG_INTERRUPT)
.LBB6_200:
	s_wait_xcnt 0x0
	s_or_b32 exec_lo, exec_lo, s1
	s_branch .LBB6_204
.LBB6_201:                              ;   in Loop: Header=BB6_204 Depth=1
	s_wait_xcnt 0x0
	s_or_b32 exec_lo, exec_lo, s1
	s_delay_alu instid0(VALU_DEP_1)
	v_readfirstlane_b32 s1, v0
	s_cmp_eq_u32 s1, 0
	s_cbranch_scc1 .LBB6_203
; %bb.202:                              ;   in Loop: Header=BB6_204 Depth=1
	s_sleep 1
	s_cbranch_execnz .LBB6_204
	s_branch .LBB6_206
.LBB6_203:
	s_branch .LBB6_206
.LBB6_204:                              ; =>This Inner Loop Header: Depth=1
	v_mov_b32_e32 v0, 1
	s_and_saveexec_b32 s1, s0
	s_cbranch_execz .LBB6_201
; %bb.205:                              ;   in Loop: Header=BB6_204 Depth=1
	global_load_b32 v0, v[10:11], off offset:20 scope:SCOPE_SYS
	s_wait_loadcnt 0x0
	global_inv scope:SCOPE_SYS
	v_and_b32_e32 v0, 1, v0
	s_branch .LBB6_201
.LBB6_206:
	s_and_saveexec_b32 s6, s0
	s_cbranch_execz .LBB6_210
; %bb.207:
	v_mov_b32_e32 v6, 0
	s_clause 0x2
	global_load_b64 v[0:1], v6, s[2:3] offset:40
	global_load_b64 v[10:11], v6, s[2:3] offset:24 scope:SCOPE_SYS
	global_load_b64 v[2:3], v6, s[2:3]
	s_wait_loadcnt 0x2
	v_readfirstlane_b32 s8, v0
	v_readfirstlane_b32 s9, v1
	s_add_nc_u64 s[0:1], s[8:9], 1
	s_delay_alu instid0(SALU_CYCLE_1) | instskip(NEXT) | instid1(SALU_CYCLE_1)
	s_add_nc_u64 s[4:5], s[0:1], s[4:5]
	s_cmp_eq_u64 s[4:5], 0
	s_cselect_b32 s1, s1, s5
	s_cselect_b32 s0, s0, s4
	v_mov_b32_e32 v9, s1
	s_and_b64 s[4:5], s[0:1], s[8:9]
	v_mov_b32_e32 v8, s0
	s_mul_u64 s[4:5], s[4:5], 24
	s_wait_loadcnt 0x0
	v_add_nc_u64_e32 v[4:5], s[4:5], v[2:3]
	global_store_b64 v[4:5], v[10:11], off
	global_wb scope:SCOPE_SYS
	s_wait_storecnt 0x0
	s_wait_xcnt 0x0
	global_atomic_cmpswap_b64 v[2:3], v6, v[8:11], s[2:3] offset:24 th:TH_ATOMIC_RETURN scope:SCOPE_SYS
	s_wait_loadcnt 0x0
	v_cmp_ne_u64_e32 vcc_lo, v[2:3], v[10:11]
	s_and_b32 exec_lo, exec_lo, vcc_lo
	s_cbranch_execz .LBB6_210
; %bb.208:
	s_mov_b32 s4, 0
.LBB6_209:                              ; =>This Inner Loop Header: Depth=1
	v_dual_mov_b32 v0, s0 :: v_dual_mov_b32 v1, s1
	s_sleep 1
	global_store_b64 v[4:5], v[2:3], off
	global_wb scope:SCOPE_SYS
	s_wait_storecnt 0x0
	s_wait_xcnt 0x0
	global_atomic_cmpswap_b64 v[0:1], v6, v[0:3], s[2:3] offset:24 th:TH_ATOMIC_RETURN scope:SCOPE_SYS
	s_wait_loadcnt 0x0
	v_cmp_eq_u64_e32 vcc_lo, v[0:1], v[2:3]
	v_mov_b64_e32 v[2:3], v[0:1]
	s_or_b32 s4, vcc_lo, s4
	s_delay_alu instid0(SALU_CYCLE_1)
	s_and_not1_b32 exec_lo, exec_lo, s4
	s_cbranch_execnz .LBB6_209
.LBB6_210:
	s_or_b32 exec_lo, exec_lo, s6
.LBB6_211:
	s_get_pc_i64 s[0:1]
	s_add_nc_u64 s[0:1], s[0:1], .str.29@rel64+4
	s_get_pc_i64 s[2:3]
	s_add_nc_u64 s[2:3], s[2:3], .str.19@rel64+4
	s_get_pc_i64 s[4:5]
	s_add_nc_u64 s[4:5], s[4:5], __PRETTY_FUNCTION__._ZN7VecsMemIjLi8192EE5fetchEi@rel64+4
	v_dual_mov_b32 v0, s0 :: v_dual_mov_b32 v1, s1
	s_wait_loadcnt 0x0
	v_dual_mov_b32 v2, s2 :: v_dual_mov_b32 v3, s3
	v_dual_mov_b32 v4, 12 :: v_dual_mov_b32 v5, s4
	v_mov_b32_e32 v6, s5
	s_get_pc_i64 s[6:7]
	s_add_nc_u64 s[6:7], s[6:7], __assert_fail@rel64+4
	s_mov_b64 s[8:9], s[52:53]
	s_swap_pc_i64 s[30:31], s[6:7]
	s_or_b32 s0, s64, exec_lo
.LBB6_212:
	s_or_b32 exec_lo, exec_lo, s18
	s_delay_alu instid0(SALU_CYCLE_1) | instskip(SKIP_1) | instid1(SALU_CYCLE_1)
	s_and_not1_b32 s1, s64, exec_lo
	s_and_b32 s0, s0, exec_lo
	s_or_b32 s18, s1, s0
	s_or_not1_b32 s1, s23, exec_lo
.LBB6_213:
	s_or_b32 exec_lo, exec_lo, s19
	s_mov_b32 s0, 0
                                        ; implicit-def: $vgpr70
                                        ; implicit-def: $vgpr66_vgpr67
	s_and_saveexec_b32 s19, s1
	s_cbranch_execz .LBB6_420
; %bb.214:
	flat_load_b64 v[66:67], v[64:65] offset:8
	v_dual_mov_b32 v1, 0 :: v_dual_mov_b32 v70, 0
	v_dual_mov_b32 v6, 0 :: v_dual_mov_b32 v84, 0
	s_mov_b32 s5, 0
	s_mov_b32 s8, 0
	;; [unrolled: 1-line block ×3, first 2 shown]
	scratch_store_b64 off, v[68:69], s33 offset:152
                                        ; implicit-def: $sgpr9
	s_branch .LBB6_216
.LBB6_215:                              ;   in Loop: Header=BB6_216 Depth=1
	s_or_b32 exec_lo, exec_lo, s3
	s_xor_b32 s0, s2, -1
	s_and_b32 s1, exec_lo, s1
	s_delay_alu instid0(SALU_CYCLE_1) | instskip(SKIP_2) | instid1(SALU_CYCLE_1)
	s_or_b32 s8, s1, s8
	s_and_not1_b32 s1, s9, exec_lo
	s_and_b32 s0, s0, exec_lo
	s_or_b32 s9, s1, s0
	s_and_not1_b32 exec_lo, exec_lo, s8
	s_cbranch_execz .LBB6_256
.LBB6_216:                              ; =>This Loop Header: Depth=1
                                        ;     Child Loop BB6_219 Depth 2
                                        ;     Child Loop BB6_224 Depth 2
                                        ;       Child Loop BB6_228 Depth 3
                                        ;     Child Loop BB6_237 Depth 2
                                        ;       Child Loop BB6_241 Depth 3
	s_mov_b32 s7, s5
	s_mov_b32 s0, -1
	s_wait_loadcnt_dscnt 0x0
	v_lshl_add_u64 v[2:3], s[6:7], 2, v[66:67]
	s_mov_b32 s7, exec_lo
	flat_load_b32 v0, v[2:3]
	s_wait_loadcnt_dscnt 0x0
	s_wait_xcnt 0x0
	v_cmpx_lt_i32_e32 -1, v0
	s_cbranch_execz .LBB6_254
; %bb.217:                              ;   in Loop: Header=BB6_216 Depth=1
	v_mov_b64_e32 v[4:5], v[80:81]
	s_mov_b32 s0, 0
	s_mov_b32 s1, 0
                                        ; implicit-def: $sgpr2
	s_branch .LBB6_219
.LBB6_218:                              ;   in Loop: Header=BB6_219 Depth=2
	s_or_b32 exec_lo, exec_lo, s3
	s_delay_alu instid0(SALU_CYCLE_1) | instskip(NEXT) | instid1(SALU_CYCLE_1)
	s_and_b32 s3, exec_lo, s2
	s_or_b32 s0, s3, s0
	s_delay_alu instid0(SALU_CYCLE_1)
	s_and_not1_b32 exec_lo, exec_lo, s0
	s_cbranch_execz .LBB6_221
.LBB6_219:                              ;   Parent Loop BB6_216 Depth=1
                                        ; =>  This Inner Loop Header: Depth=2
	flat_load_b32 v8, v[4:5]
	s_or_b32 s2, s2, exec_lo
	s_wait_loadcnt_dscnt 0x0
	v_and_b32_e32 v7, v8, v0
	s_delay_alu instid0(VALU_DEP_1)
	v_cmp_ne_u32_e32 vcc_lo, v7, v8
	v_mov_b32_e32 v7, s1
	s_wait_xcnt 0x0
	s_and_saveexec_b32 s3, vcc_lo
	s_cbranch_execz .LBB6_218
; %bb.220:                              ;   in Loop: Header=BB6_219 Depth=2
	s_add_co_i32 s1, s1, 1
	v_add_nc_u64_e32 v[4:5], 4, v[4:5]
	v_cmp_eq_u32_e32 vcc_lo, s1, v55
	v_mov_b32_e32 v7, v55
	s_and_not1_b32 s2, s2, exec_lo
	s_and_b32 s4, vcc_lo, exec_lo
	s_delay_alu instid0(SALU_CYCLE_1)
	s_or_b32 s2, s2, s4
	s_branch .LBB6_218
.LBB6_221:                              ;   in Loop: Header=BB6_216 Depth=1
	s_or_b32 exec_lo, exec_lo, s0
	s_mov_b32 s0, -1
	s_mov_b32 s10, exec_lo
	v_cmpx_ne_u32_e64 v7, v55
	s_cbranch_execz .LBB6_253
; %bb.222:                              ;   in Loop: Header=BB6_216 Depth=1
	v_bitop3_b32 v8, v0, v8, v0 bitop3:0x30
	s_mov_b32 s3, 0
	v_cmp_lt_i32_e32 vcc_lo, 0, v58
	s_mov_b32 s4, s3
	s_branch .LBB6_224
.LBB6_223:                              ;   in Loop: Header=BB6_224 Depth=2
	s_or_b32 exec_lo, exec_lo, s2
	s_delay_alu instid0(SALU_CYCLE_1) | instskip(NEXT) | instid1(SALU_CYCLE_1)
	s_and_b32 s0, exec_lo, s11
	s_or_b32 s3, s0, s3
	s_delay_alu instid0(SALU_CYCLE_1)
	s_and_not1_b32 exec_lo, exec_lo, s3
	s_cbranch_execz .LBB6_234
.LBB6_224:                              ;   Parent Loop BB6_216 Depth=1
                                        ; =>  This Loop Header: Depth=2
                                        ;       Child Loop BB6_228 Depth 3
	s_mov_b32 s11, -1
	s_mov_b32 s1, -1
	s_mov_b32 s12, exec_lo
	v_cmpx_ne_u32_e64 s4, v7
	s_cbranch_execz .LBB6_232
; %bb.225:                              ;   in Loop: Header=BB6_224 Depth=2
	v_mov_b32_e32 v11, 0
	s_and_saveexec_b32 s13, vcc_lo
	s_cbranch_execz .LBB6_231
; %bb.226:                              ;   in Loop: Header=BB6_224 Depth=2
	v_lshl_add_u64 v[4:5], s[4:5], 2, v[80:81]
	s_mov_b32 s14, 0
	s_mov_b32 s15, 0
                                        ; implicit-def: $sgpr16
	flat_load_b32 v9, v[4:5]
	s_wait_xcnt 0x0
	v_mov_b64_e32 v[4:5], v[66:67]
	s_wait_loadcnt_dscnt 0x0
	v_not_b32_e32 v10, v9
	s_branch .LBB6_228
.LBB6_227:                              ;   in Loop: Header=BB6_228 Depth=3
	s_or_b32 exec_lo, exec_lo, s1
	s_delay_alu instid0(SALU_CYCLE_1) | instskip(NEXT) | instid1(SALU_CYCLE_1)
	s_and_b32 s0, exec_lo, s16
	s_or_b32 s14, s0, s14
	s_delay_alu instid0(SALU_CYCLE_1)
	s_and_not1_b32 exec_lo, exec_lo, s14
	s_cbranch_execz .LBB6_230
.LBB6_228:                              ;   Parent Loop BB6_216 Depth=1
                                        ;     Parent Loop BB6_224 Depth=2
                                        ; =>    This Inner Loop Header: Depth=3
	flat_load_b32 v6, v[4:5]
	s_or_b32 s16, s16, exec_lo
	s_wait_loadcnt_dscnt 0x0
	v_and_b32_e32 v11, v6, v9
	v_and_b32_e32 v12, v6, v10
	v_cmp_gt_i32_e64 s2, 0, v6
	s_delay_alu instid0(VALU_DEP_3) | instskip(SKIP_1) | instid1(VALU_DEP_4)
	v_cmp_ne_u32_e64 s0, v11, v9
	v_mov_b32_e32 v11, s15
	v_cmp_ne_u32_e64 s1, v8, v12
	s_or_b32 s0, s0, s1
	s_delay_alu instid0(SALU_CYCLE_1)
	s_or_b32 s0, s0, s2
	s_wait_xcnt 0x0
	s_and_saveexec_b32 s1, s0
	s_cbranch_execz .LBB6_227
; %bb.229:                              ;   in Loop: Header=BB6_228 Depth=3
	s_add_co_i32 s15, s15, 1
	v_add_nc_u64_e32 v[4:5], 4, v[4:5]
	v_cmp_eq_u32_e64 s0, s15, v58
	v_mov_b32_e32 v11, v58
	s_and_not1_b32 s2, s16, exec_lo
	s_and_b32 s0, s0, exec_lo
	s_delay_alu instid0(SALU_CYCLE_1)
	s_or_b32 s16, s2, s0
	s_branch .LBB6_227
.LBB6_230:                              ;   in Loop: Header=BB6_224 Depth=2
	s_or_b32 exec_lo, exec_lo, s14
.LBB6_231:                              ;   in Loop: Header=BB6_224 Depth=2
	s_delay_alu instid0(SALU_CYCLE_1) | instskip(NEXT) | instid1(VALU_DEP_1)
	s_or_b32 exec_lo, exec_lo, s13
	v_cmp_ne_u32_e64 s0, v11, v58
	s_or_not1_b32 s1, s0, exec_lo
.LBB6_232:                              ;   in Loop: Header=BB6_224 Depth=2
	s_or_b32 exec_lo, exec_lo, s12
	v_mov_b32_e32 v4, s4
	s_and_saveexec_b32 s2, s1
	s_cbranch_execz .LBB6_223
; %bb.233:                              ;   in Loop: Header=BB6_224 Depth=2
	s_add_co_i32 s4, s4, 1
	v_mov_b32_e32 v4, v55
	v_cmp_eq_u32_e64 s0, s4, v55
	s_or_not1_b32 s11, s0, exec_lo
	s_branch .LBB6_223
.LBB6_234:                              ;   in Loop: Header=BB6_216 Depth=1
	s_or_b32 exec_lo, exec_lo, s3
	s_mov_b32 s0, -1
	s_mov_b32 s11, exec_lo
	v_cmpx_eq_u32_e64 v4, v55
	s_cbranch_execz .LBB6_252
; %bb.235:                              ;   in Loop: Header=BB6_216 Depth=1
	v_dual_ashrrev_i32 v71, 31, v70 :: v_dual_add_nc_u32 v84, 1, v70
	v_or_b32_e32 v0, 0x80000000, v0
	s_mov_b32 s12, 0
                                        ; implicit-def: $sgpr13
	s_delay_alu instid0(SALU_CYCLE_1) | instskip(NEXT) | instid1(VALU_DEP_2)
	s_mov_b32 s4, s12
	v_lshl_add_u64 v[4:5], v[70:71], 2, v[68:69]
	flat_store_b32 v[4:5], v8
	flat_store_b32 v[2:3], v0
	s_branch .LBB6_237
.LBB6_236:                              ;   in Loop: Header=BB6_237 Depth=2
	s_or_b32 exec_lo, exec_lo, s2
	s_xor_b32 s0, s1, -1
	s_and_b32 s1, exec_lo, s14
	s_delay_alu instid0(SALU_CYCLE_1) | instskip(SKIP_2) | instid1(SALU_CYCLE_1)
	s_or_b32 s12, s1, s12
	s_and_not1_b32 s1, s13, exec_lo
	s_and_b32 s0, s0, exec_lo
	s_or_b32 s13, s1, s0
	s_and_not1_b32 exec_lo, exec_lo, s12
	s_cbranch_execz .LBB6_249
.LBB6_237:                              ;   Parent Loop BB6_216 Depth=1
                                        ; =>  This Loop Header: Depth=2
                                        ;       Child Loop BB6_241 Depth 3
	s_mov_b32 s14, -1
	s_mov_b32 s0, -1
	s_mov_b32 s15, exec_lo
	s_wait_xcnt 0x0
	v_cmpx_ne_u32_e64 s4, v7
	s_cbranch_execz .LBB6_247
; %bb.238:                              ;   in Loop: Header=BB6_237 Depth=2
	flat_load_b32 v0, v[64:65] offset:4
	v_mov_b64_e32 v[4:5], 0
	s_mov_b32 s0, 0
	s_mov_b32 s16, exec_lo
	s_wait_loadcnt_dscnt 0x0
	v_cmpx_lt_i32_e32 0, v0
	s_cbranch_execz .LBB6_244
; %bb.239:                              ;   in Loop: Header=BB6_237 Depth=2
	v_lshl_add_u64 v[2:3], s[4:5], 2, v[80:81]
	s_mov_b64 s[2:3], 0
	s_mov_b32 s23, 0
                                        ; implicit-def: $sgpr24
                                        ; implicit-def: $sgpr26
                                        ; implicit-def: $sgpr25
	flat_load_b32 v9, v[2:3]
	s_wait_xcnt 0x0
	v_mov_b64_e32 v[2:3], v[66:67]
	s_wait_loadcnt_dscnt 0x0
	v_not_b32_e32 v10, v9
	s_branch .LBB6_241
.LBB6_240:                              ;   in Loop: Header=BB6_241 Depth=3
	s_or_b32 exec_lo, exec_lo, s0
	s_delay_alu instid0(SALU_CYCLE_1) | instskip(NEXT) | instid1(SALU_CYCLE_1)
	s_and_b32 s0, exec_lo, s26
	s_or_b32 s23, s0, s23
	s_and_not1_b32 s0, s24, exec_lo
	s_and_b32 s1, s25, exec_lo
	s_delay_alu instid0(SALU_CYCLE_1)
	s_or_b32 s24, s0, s1
	s_and_not1_b32 exec_lo, exec_lo, s23
	s_cbranch_execz .LBB6_243
.LBB6_241:                              ;   Parent Loop BB6_216 Depth=1
                                        ;     Parent Loop BB6_237 Depth=2
                                        ; =>    This Inner Loop Header: Depth=3
	flat_load_b32 v6, v[2:3]
	s_or_b32 s25, s25, exec_lo
	s_or_b32 s26, s26, exec_lo
	s_wait_loadcnt_dscnt 0x0
	v_and_b32_e32 v4, v6, v9
	v_and_b32_e32 v5, v6, v10
	v_cmp_gt_i32_e64 s1, 0, v6
	s_delay_alu instid0(VALU_DEP_3) | instskip(NEXT) | instid1(VALU_DEP_3)
	v_cmp_ne_u32_e32 vcc_lo, v4, v9
	v_cmp_ne_u32_e64 s0, v8, v5
	v_mov_b64_e32 v[4:5], s[2:3]
	s_or_b32 s0, vcc_lo, s0
	s_delay_alu instid0(SALU_CYCLE_1)
	s_or_b32 s1, s0, s1
	s_wait_xcnt 0x0
	s_and_saveexec_b32 s0, s1
	s_cbranch_execz .LBB6_240
; %bb.242:                              ;   in Loop: Header=BB6_241 Depth=3
	s_add_nc_u64 s[2:3], s[2:3], 1
	v_add_nc_u64_e32 v[2:3], 4, v[2:3]
	v_cmp_eq_u32_e32 vcc_lo, s2, v0
	v_mov_b64_e32 v[4:5], v[0:1]
	s_and_not1_b32 s1, s26, exec_lo
	s_and_not1_b32 s25, s25, exec_lo
	s_and_b32 s26, vcc_lo, exec_lo
	s_delay_alu instid0(SALU_CYCLE_1)
	s_or_b32 s26, s1, s26
	s_branch .LBB6_240
.LBB6_243:                              ;   in Loop: Header=BB6_237 Depth=2
	s_or_b32 exec_lo, exec_lo, s23
	s_delay_alu instid0(SALU_CYCLE_1)
	s_and_b32 s0, s24, exec_lo
.LBB6_244:                              ;   in Loop: Header=BB6_237 Depth=2
	s_or_b32 exec_lo, exec_lo, s16
	s_mov_b32 s1, 0
	s_and_saveexec_b32 s2, s0
	s_cbranch_execz .LBB6_246
; %bb.245:                              ;   in Loop: Header=BB6_237 Depth=2
	v_or_b32_e32 v0, 0x80000000, v6
	v_lshl_add_u64 v[2:3], v[4:5], 2, v[66:67]
	s_mov_b32 s1, exec_lo
	flat_store_b32 v[2:3], v0
.LBB6_246:                              ;   in Loop: Header=BB6_237 Depth=2
	s_wait_xcnt 0x0
	s_or_b32 exec_lo, exec_lo, s2
	s_delay_alu instid0(SALU_CYCLE_1)
	s_or_not1_b32 s0, s1, exec_lo
.LBB6_247:                              ;   in Loop: Header=BB6_237 Depth=2
	s_or_b32 exec_lo, exec_lo, s15
	s_mov_b32 s1, -1
	s_and_saveexec_b32 s2, s0
	s_cbranch_execz .LBB6_236
; %bb.248:                              ;   in Loop: Header=BB6_237 Depth=2
	s_add_co_i32 s4, s4, 1
	s_xor_b32 s1, exec_lo, -1
	v_cmp_eq_u32_e32 vcc_lo, s4, v55
	s_or_not1_b32 s14, vcc_lo, exec_lo
	s_branch .LBB6_236
.LBB6_249:                              ;   in Loop: Header=BB6_216 Depth=1
	s_or_b32 exec_lo, exec_lo, s12
	s_mov_b32 s0, 0
                                        ; implicit-def: $vgpr58
	s_and_saveexec_b32 s1, s13
	s_delay_alu instid0(SALU_CYCLE_1)
	s_xor_b32 s1, exec_lo, s1
	s_cbranch_execz .LBB6_251
; %bb.250:                              ;   in Loop: Header=BB6_216 Depth=1
	flat_load_b32 v58, v[64:65] offset:4
	s_mov_b32 s0, exec_lo
.LBB6_251:                              ;   in Loop: Header=BB6_216 Depth=1
	s_wait_xcnt 0x0
	s_or_b32 exec_lo, exec_lo, s1
	v_mov_b32_e32 v70, v84
	s_or_not1_b32 s0, s0, exec_lo
.LBB6_252:                              ;   in Loop: Header=BB6_216 Depth=1
	s_or_b32 exec_lo, exec_lo, s11
	s_delay_alu instid0(SALU_CYCLE_1)
	s_or_not1_b32 s0, s0, exec_lo
.LBB6_253:                              ;   in Loop: Header=BB6_216 Depth=1
	s_or_b32 exec_lo, exec_lo, s10
	s_delay_alu instid0(SALU_CYCLE_1)
	s_or_not1_b32 s0, s0, exec_lo
.LBB6_254:                              ;   in Loop: Header=BB6_216 Depth=1
	s_or_b32 exec_lo, exec_lo, s7
	s_mov_b32 s1, -1
	s_mov_b32 s2, -1
	s_and_saveexec_b32 s3, s0
	s_cbranch_execz .LBB6_215
; %bb.255:                              ;   in Loop: Header=BB6_216 Depth=1
	s_add_co_i32 s6, s6, 1
	s_xor_b32 s2, exec_lo, -1
	s_wait_loadcnt_dscnt 0x0
	v_cmp_ge_i32_e32 vcc_lo, s6, v58
	s_or_not1_b32 s1, vcc_lo, exec_lo
	s_branch .LBB6_215
.LBB6_256:
	s_or_b32 exec_lo, exec_lo, s8
	s_mov_b32 s24, 0
	s_mov_b32 s25, s18
	s_and_saveexec_b32 s0, s9
	s_delay_alu instid0(SALU_CYCLE_1)
	s_xor_b32 s23, exec_lo, s0
	s_cbranch_execz .LBB6_417
; %bb.257:
	v_mul_lo_u32 v0, v70, v55
	v_mov_b64_e32 v[82:83], 0
	s_mov_b32 s0, -1
	s_mov_b32 s26, s18
	s_mov_b32 s24, exec_lo
	s_wait_loadcnt_dscnt 0x0
	s_delay_alu instid0(VALU_DEP_2)
	v_dual_sub_nc_u32 v80, v58, v0 :: v_dual_mov_b32 v0, 0
	s_clause 0x1
	scratch_store_b32 off, v84, s33 offset:148
	scratch_store_b32 off, v0, s33 offset:164
	s_wait_xcnt 0x0
	v_cmpx_lt_i32_e32 0, v80
	s_cbranch_execz .LBB6_404
; %bb.258:
	flat_load_b32 v0, v[60:61]
	v_mov_b64_e32 v[82:83], 0
	s_mov_b32 s25, 0
	s_mov_b32 s0, exec_lo
	s_wait_loadcnt_dscnt 0x0
	v_add_nc_u32_e32 v0, v0, v80
	s_wait_xcnt 0x0
	s_delay_alu instid0(VALU_DEP_1)
	v_cmpx_gt_i32_e32 0x2001, v0
	s_xor_b32 s0, exec_lo, s0
	s_cbranch_execz .LBB6_260
; %bb.259:
	v_dual_mov_b32 v81, 0 :: v_dual_ashrrev_i32 v1, 31, v0
	s_mov_b32 s25, exec_lo
	flat_store_b32 v[60:61], v0
	v_lshlrev_b64_e32 v[2:3], 2, v[80:81]
	v_lshl_add_u64 v[4:5], v[0:1], 2, v[60:61]
	s_delay_alu instid0(VALU_DEP_1) | instskip(NEXT) | instid1(VALU_DEP_1)
	v_sub_nc_u64_e32 v[2:3], v[4:5], v[2:3]
	v_add_nc_u64_e32 v[82:83], 4, v[2:3]
.LBB6_260:
	s_wait_xcnt 0x0
	s_or_saveexec_b32 s26, s0
	s_mov_b32 s0, s18
	s_xor_b32 exec_lo, exec_lo, s26
	s_cbranch_execz .LBB6_403
; %bb.261:
	s_load_b64 s[2:3], s[52:53], 0x50
	v_mbcnt_lo_u32_b32 v32, -1, 0
	v_mov_b64_e32 v[2:3], 0
	s_delay_alu instid0(VALU_DEP_2) | instskip(NEXT) | instid1(VALU_DEP_1)
	v_readfirstlane_b32 s0, v32
	v_cmp_eq_u32_e64 s0, s0, v32
	s_and_saveexec_b32 s1, s0
	s_cbranch_execz .LBB6_267
; %bb.262:
	v_mov_b32_e32 v0, 0
	s_mov_b32 s4, exec_lo
	s_wait_kmcnt 0x0
	global_load_b64 v[4:5], v0, s[2:3] offset:24 scope:SCOPE_SYS
	s_wait_loadcnt 0x0
	global_inv scope:SCOPE_SYS
	s_clause 0x1
	global_load_b64 v[2:3], v0, s[2:3] offset:40
	global_load_b64 v[6:7], v0, s[2:3]
	s_wait_loadcnt 0x1
	v_and_b32_e32 v2, v2, v4
	v_and_b32_e32 v3, v3, v5
	s_delay_alu instid0(VALU_DEP_1) | instskip(SKIP_1) | instid1(VALU_DEP_1)
	v_mul_u64_e32 v[2:3], 24, v[2:3]
	s_wait_loadcnt 0x0
	v_add_nc_u64_e32 v[2:3], v[6:7], v[2:3]
	global_load_b64 v[2:3], v[2:3], off scope:SCOPE_SYS
	s_wait_xcnt 0x0
	s_wait_loadcnt 0x0
	global_atomic_cmpswap_b64 v[2:3], v0, v[2:5], s[2:3] offset:24 th:TH_ATOMIC_RETURN scope:SCOPE_SYS
	s_wait_loadcnt 0x0
	global_inv scope:SCOPE_SYS
	s_wait_xcnt 0x0
	v_cmpx_ne_u64_e64 v[2:3], v[4:5]
	s_cbranch_execz .LBB6_266
; %bb.263:
	s_mov_b32 s5, 0
.LBB6_264:                              ; =>This Inner Loop Header: Depth=1
	s_sleep 1
	s_clause 0x1
	global_load_b64 v[6:7], v0, s[2:3] offset:40
	global_load_b64 v[8:9], v0, s[2:3]
	v_mov_b64_e32 v[4:5], v[2:3]
	s_wait_loadcnt 0x1
	s_delay_alu instid0(VALU_DEP_1) | instskip(SKIP_1) | instid1(VALU_DEP_1)
	v_and_b32_e32 v1, v6, v4
	s_wait_loadcnt 0x0
	v_mad_nc_u64_u32 v[2:3], v1, 24, v[8:9]
	s_delay_alu instid0(VALU_DEP_3) | instskip(NEXT) | instid1(VALU_DEP_1)
	v_and_b32_e32 v1, v7, v5
	v_mad_u32 v3, v1, 24, v3
	global_load_b64 v[2:3], v[2:3], off scope:SCOPE_SYS
	s_wait_xcnt 0x0
	s_wait_loadcnt 0x0
	global_atomic_cmpswap_b64 v[2:3], v0, v[2:5], s[2:3] offset:24 th:TH_ATOMIC_RETURN scope:SCOPE_SYS
	s_wait_loadcnt 0x0
	global_inv scope:SCOPE_SYS
	v_cmp_eq_u64_e32 vcc_lo, v[2:3], v[4:5]
	s_or_b32 s5, vcc_lo, s5
	s_wait_xcnt 0x0
	s_and_not1_b32 exec_lo, exec_lo, s5
	s_cbranch_execnz .LBB6_264
; %bb.265:
	s_or_b32 exec_lo, exec_lo, s5
.LBB6_266:
	s_delay_alu instid0(SALU_CYCLE_1)
	s_or_b32 exec_lo, exec_lo, s4
.LBB6_267:
	s_delay_alu instid0(SALU_CYCLE_1)
	s_or_b32 exec_lo, exec_lo, s1
	v_readfirstlane_b32 s4, v2
	v_mov_b32_e32 v1, 0
	v_readfirstlane_b32 s5, v3
	s_mov_b32 s1, exec_lo
	s_wait_kmcnt 0x0
	s_clause 0x1
	global_load_b64 v[8:9], v1, s[2:3] offset:40
	global_load_b128 v[4:7], v1, s[2:3]
	s_wait_loadcnt 0x1
	v_and_b32_e32 v10, s4, v8
	v_and_b32_e32 v11, s5, v9
	s_delay_alu instid0(VALU_DEP_1) | instskip(SKIP_1) | instid1(VALU_DEP_1)
	v_mul_u64_e32 v[2:3], 24, v[10:11]
	s_wait_loadcnt 0x0
	v_add_nc_u64_e32 v[8:9], v[4:5], v[2:3]
	s_wait_xcnt 0x0
	s_and_saveexec_b32 s6, s0
	s_cbranch_execz .LBB6_269
; %bb.268:
	v_mov_b64_e32 v[2:3], 0x100000002
	v_mov_b32_e32 v0, s1
	global_store_b128 v[8:9], v[0:3], off offset:8
.LBB6_269:
	s_wait_xcnt 0x0
	s_or_b32 exec_lo, exec_lo, s6
	v_lshlrev_b64_e32 v[2:3], 12, v[10:11]
	s_mov_b32 s8, 0
	v_dual_lshlrev_b32 v0, 6, v32 :: v_dual_mov_b32 v10, 33
	s_mov_b32 s10, s8
	s_mov_b32 s11, s8
	;; [unrolled: 1-line block ×3, first 2 shown]
	s_delay_alu instid0(VALU_DEP_2)
	v_add_nc_u64_e32 v[6:7], v[6:7], v[2:3]
	v_mov_b64_e32 v[16:17], s[10:11]
	v_mov_b64_e32 v[14:15], s[8:9]
	v_dual_mov_b32 v11, v1 :: v_dual_mov_b32 v12, v1
	v_mov_b32_e32 v13, v1
	v_readfirstlane_b32 s6, v6
	v_readfirstlane_b32 s7, v7
	s_clause 0x3
	global_store_b128 v0, v[10:13], s[6:7]
	global_store_b128 v0, v[14:17], s[6:7] offset:16
	global_store_b128 v0, v[14:17], s[6:7] offset:32
	;; [unrolled: 1-line block ×3, first 2 shown]
	s_wait_xcnt 0x0
	s_and_saveexec_b32 s1, s0
	s_cbranch_execz .LBB6_277
; %bb.270:
	v_dual_mov_b32 v12, 0 :: v_dual_mov_b32 v15, s5
	s_mov_b32 s6, exec_lo
	s_clause 0x1
	global_load_b64 v[16:17], v12, s[2:3] offset:32 scope:SCOPE_SYS
	global_load_b64 v[2:3], v12, s[2:3] offset:40
	s_wait_loadcnt 0x0
	v_dual_mov_b32 v14, s4 :: v_dual_bitop2_b32 v3, s5, v3 bitop3:0x40
	v_and_b32_e32 v2, s4, v2
	s_delay_alu instid0(VALU_DEP_1) | instskip(NEXT) | instid1(VALU_DEP_1)
	v_mul_u64_e32 v[2:3], 24, v[2:3]
	v_add_nc_u64_e32 v[10:11], v[4:5], v[2:3]
	global_store_b64 v[10:11], v[16:17], off
	global_wb scope:SCOPE_SYS
	s_wait_storecnt 0x0
	s_wait_xcnt 0x0
	global_atomic_cmpswap_b64 v[4:5], v12, v[14:17], s[2:3] offset:32 th:TH_ATOMIC_RETURN scope:SCOPE_SYS
	s_wait_loadcnt 0x0
	v_cmpx_ne_u64_e64 v[4:5], v[16:17]
	s_cbranch_execz .LBB6_273
; %bb.271:
	s_mov_b32 s7, 0
.LBB6_272:                              ; =>This Inner Loop Header: Depth=1
	v_dual_mov_b32 v2, s4 :: v_dual_mov_b32 v3, s5
	s_sleep 1
	global_store_b64 v[10:11], v[4:5], off
	global_wb scope:SCOPE_SYS
	s_wait_storecnt 0x0
	s_wait_xcnt 0x0
	global_atomic_cmpswap_b64 v[2:3], v12, v[2:5], s[2:3] offset:32 th:TH_ATOMIC_RETURN scope:SCOPE_SYS
	s_wait_loadcnt 0x0
	v_cmp_eq_u64_e32 vcc_lo, v[2:3], v[4:5]
	v_mov_b64_e32 v[4:5], v[2:3]
	s_or_b32 s7, vcc_lo, s7
	s_delay_alu instid0(SALU_CYCLE_1)
	s_and_not1_b32 exec_lo, exec_lo, s7
	s_cbranch_execnz .LBB6_272
.LBB6_273:
	s_or_b32 exec_lo, exec_lo, s6
	v_mov_b32_e32 v5, 0
	s_mov_b32 s7, exec_lo
	s_mov_b32 s6, exec_lo
	v_mbcnt_lo_u32_b32 v4, s7, 0
	global_load_b64 v[2:3], v5, s[2:3] offset:16
	s_wait_xcnt 0x0
	v_cmpx_eq_u32_e32 0, v4
	s_cbranch_execz .LBB6_275
; %bb.274:
	s_bcnt1_i32_b32 s7, s7
	s_delay_alu instid0(SALU_CYCLE_1)
	v_mov_b32_e32 v4, s7
	global_wb scope:SCOPE_SYS
	s_wait_loadcnt 0x0
	s_wait_storecnt 0x0
	global_atomic_add_u64 v[2:3], v[4:5], off offset:8 scope:SCOPE_SYS
.LBB6_275:
	s_wait_xcnt 0x0
	s_or_b32 exec_lo, exec_lo, s6
	s_wait_loadcnt 0x0
	global_load_b64 v[4:5], v[2:3], off offset:16
	s_wait_loadcnt 0x0
	v_cmp_eq_u64_e32 vcc_lo, 0, v[4:5]
	s_cbranch_vccnz .LBB6_277
; %bb.276:
	global_load_b32 v2, v[2:3], off offset:24
	s_wait_xcnt 0x0
	v_mov_b32_e32 v3, 0
	s_wait_loadcnt 0x0
	v_readfirstlane_b32 s6, v2
	global_wb scope:SCOPE_SYS
	s_wait_storecnt 0x0
	global_store_b64 v[4:5], v[2:3], off scope:SCOPE_SYS
	s_and_b32 m0, s6, 0xffffff
	s_sendmsg sendmsg(MSG_INTERRUPT)
.LBB6_277:
	s_wait_xcnt 0x0
	s_or_b32 exec_lo, exec_lo, s1
	v_add_nc_u64_e32 v[2:3], v[6:7], v[0:1]
	s_branch .LBB6_281
.LBB6_278:                              ;   in Loop: Header=BB6_281 Depth=1
	s_wait_xcnt 0x0
	s_or_b32 exec_lo, exec_lo, s1
	s_delay_alu instid0(VALU_DEP_1)
	v_readfirstlane_b32 s1, v1
	s_cmp_eq_u32 s1, 0
	s_cbranch_scc1 .LBB6_280
; %bb.279:                              ;   in Loop: Header=BB6_281 Depth=1
	s_sleep 1
	s_cbranch_execnz .LBB6_281
	s_branch .LBB6_283
.LBB6_280:
	s_branch .LBB6_283
.LBB6_281:                              ; =>This Inner Loop Header: Depth=1
	v_mov_b32_e32 v1, 1
	s_and_saveexec_b32 s1, s0
	s_cbranch_execz .LBB6_278
; %bb.282:                              ;   in Loop: Header=BB6_281 Depth=1
	global_load_b32 v1, v[8:9], off offset:20 scope:SCOPE_SYS
	s_wait_loadcnt 0x0
	global_inv scope:SCOPE_SYS
	v_and_b32_e32 v1, 1, v1
	s_branch .LBB6_278
.LBB6_283:
	global_load_b64 v[2:3], v[2:3], off
	s_wait_xcnt 0x0
	s_and_saveexec_b32 s6, s0
	s_cbranch_execz .LBB6_287
; %bb.284:
	v_mov_b32_e32 v1, 0
	s_clause 0x2
	global_load_b64 v[4:5], v1, s[2:3] offset:40
	global_load_b64 v[12:13], v1, s[2:3] offset:24 scope:SCOPE_SYS
	global_load_b64 v[6:7], v1, s[2:3]
	s_wait_loadcnt 0x2
	v_readfirstlane_b32 s8, v4
	v_readfirstlane_b32 s9, v5
	s_add_nc_u64 s[0:1], s[8:9], 1
	s_delay_alu instid0(SALU_CYCLE_1) | instskip(NEXT) | instid1(SALU_CYCLE_1)
	s_add_nc_u64 s[4:5], s[0:1], s[4:5]
	s_cmp_eq_u64 s[4:5], 0
	s_cselect_b32 s1, s1, s5
	s_cselect_b32 s0, s0, s4
	v_mov_b32_e32 v11, s1
	s_and_b64 s[4:5], s[0:1], s[8:9]
	v_mov_b32_e32 v10, s0
	s_mul_u64 s[4:5], s[4:5], 24
	s_wait_loadcnt 0x0
	v_add_nc_u64_e32 v[8:9], s[4:5], v[6:7]
	global_store_b64 v[8:9], v[12:13], off
	global_wb scope:SCOPE_SYS
	s_wait_storecnt 0x0
	s_wait_xcnt 0x0
	global_atomic_cmpswap_b64 v[6:7], v1, v[10:13], s[2:3] offset:24 th:TH_ATOMIC_RETURN scope:SCOPE_SYS
	s_wait_loadcnt 0x0
	v_cmp_ne_u64_e32 vcc_lo, v[6:7], v[12:13]
	s_and_b32 exec_lo, exec_lo, vcc_lo
	s_cbranch_execz .LBB6_287
; %bb.285:
	s_mov_b32 s4, 0
.LBB6_286:                              ; =>This Inner Loop Header: Depth=1
	v_dual_mov_b32 v4, s0 :: v_dual_mov_b32 v5, s1
	s_sleep 1
	global_store_b64 v[8:9], v[6:7], off
	global_wb scope:SCOPE_SYS
	s_wait_storecnt 0x0
	s_wait_xcnt 0x0
	global_atomic_cmpswap_b64 v[4:5], v1, v[4:7], s[2:3] offset:24 th:TH_ATOMIC_RETURN scope:SCOPE_SYS
	s_wait_loadcnt 0x0
	v_cmp_eq_u64_e32 vcc_lo, v[4:5], v[6:7]
	v_mov_b64_e32 v[6:7], v[4:5]
	s_or_b32 s4, vcc_lo, s4
	s_delay_alu instid0(SALU_CYCLE_1)
	s_and_not1_b32 exec_lo, exec_lo, s4
	s_cbranch_execnz .LBB6_286
.LBB6_287:
	s_or_b32 exec_lo, exec_lo, s6
	s_get_pc_i64 s[4:5]
	s_add_nc_u64 s[4:5], s[4:5], .str.28@rel64+4
	s_delay_alu instid0(SALU_CYCLE_1)
	s_cmp_lg_u64 s[4:5], 0
	s_cbranch_scc0 .LBB6_373
; %bb.288:
	v_mov_b64_e32 v[6:7], 0x100000002
	s_wait_loadcnt 0x0
	v_dual_mov_b32 v9, v3 :: v_dual_bitop2_b32 v8, -3, v2 bitop3:0x40
	v_mov_b32_e32 v5, 0
	s_mov_b64 s[6:7], 35
	s_branch .LBB6_290
.LBB6_289:                              ;   in Loop: Header=BB6_290 Depth=1
	s_or_b32 exec_lo, exec_lo, s12
	s_sub_nc_u64 s[6:7], s[6:7], s[8:9]
	s_add_nc_u64 s[4:5], s[4:5], s[8:9]
	s_cmp_lg_u64 s[6:7], 0
	s_cbranch_scc0 .LBB6_372
.LBB6_290:                              ; =>This Loop Header: Depth=1
                                        ;     Child Loop BB6_293 Depth 2
                                        ;     Child Loop BB6_301 Depth 2
                                        ;     Child Loop BB6_309 Depth 2
                                        ;     Child Loop BB6_317 Depth 2
                                        ;     Child Loop BB6_325 Depth 2
                                        ;     Child Loop BB6_333 Depth 2
                                        ;     Child Loop BB6_341 Depth 2
                                        ;     Child Loop BB6_349 Depth 2
                                        ;     Child Loop BB6_357 Depth 2
                                        ;     Child Loop BB6_366 Depth 2
                                        ;     Child Loop BB6_371 Depth 2
	s_wait_loadcnt 0x0
	v_min_u64 v[10:11], s[6:7], 56
	v_cmp_gt_u64_e64 s0, s[6:7], 7
	s_and_b32 vcc_lo, exec_lo, s0
	v_readfirstlane_b32 s8, v10
	v_readfirstlane_b32 s9, v11
	s_cbranch_vccnz .LBB6_295
; %bb.291:                              ;   in Loop: Header=BB6_290 Depth=1
	v_mov_b64_e32 v[10:11], 0
	s_cmp_eq_u64 s[6:7], 0
	s_cbranch_scc1 .LBB6_294
; %bb.292:                              ;   in Loop: Header=BB6_290 Depth=1
	s_mov_b64 s[0:1], 0
	s_mov_b64 s[10:11], 0
.LBB6_293:                              ;   Parent Loop BB6_290 Depth=1
                                        ; =>  This Inner Loop Header: Depth=2
	s_wait_xcnt 0x0
	s_add_nc_u64 s[12:13], s[4:5], s[10:11]
	s_add_nc_u64 s[10:11], s[10:11], 1
	global_load_u8 v1, v5, s[12:13]
	s_cmp_lg_u32 s8, s10
	s_wait_loadcnt 0x0
	v_and_b32_e32 v4, 0xffff, v1
	s_delay_alu instid0(VALU_DEP_1) | instskip(SKIP_1) | instid1(VALU_DEP_1)
	v_lshlrev_b64_e32 v[12:13], s0, v[4:5]
	s_add_nc_u64 s[0:1], s[0:1], 8
	v_or_b32_e32 v10, v12, v10
	s_delay_alu instid0(VALU_DEP_2)
	v_or_b32_e32 v11, v13, v11
	s_cbranch_scc1 .LBB6_293
.LBB6_294:                              ;   in Loop: Header=BB6_290 Depth=1
	s_mov_b32 s0, 0
	s_mov_b64 s[10:11], s[4:5]
	s_branch .LBB6_296
.LBB6_295:                              ;   in Loop: Header=BB6_290 Depth=1
	s_add_nc_u64 s[10:11], s[4:5], 8
	s_mov_b32 s0, -1
.LBB6_296:                              ;   in Loop: Header=BB6_290 Depth=1
	s_delay_alu instid0(SALU_CYCLE_1)
	s_and_not1_b32 vcc_lo, exec_lo, s0
	s_mov_b32 s14, 0
	s_cbranch_vccnz .LBB6_298
; %bb.297:                              ;   in Loop: Header=BB6_290 Depth=1
	global_load_b64 v[10:11], v5, s[4:5]
	s_add_co_i32 s14, s8, -8
.LBB6_298:                              ;   in Loop: Header=BB6_290 Depth=1
	s_delay_alu instid0(SALU_CYCLE_1)
	s_cmp_gt_u32 s14, 7
	s_cbranch_scc1 .LBB6_303
; %bb.299:                              ;   in Loop: Header=BB6_290 Depth=1
	v_mov_b64_e32 v[12:13], 0
	s_cmp_eq_u32 s14, 0
	s_cbranch_scc1 .LBB6_302
; %bb.300:                              ;   in Loop: Header=BB6_290 Depth=1
	s_mov_b64 s[0:1], 0
	s_wait_xcnt 0x0
	s_mov_b64 s[12:13], 0
.LBB6_301:                              ;   Parent Loop BB6_290 Depth=1
                                        ; =>  This Inner Loop Header: Depth=2
	s_wait_xcnt 0x0
	s_add_nc_u64 s[40:41], s[10:11], s[12:13]
	s_add_nc_u64 s[12:13], s[12:13], 1
	global_load_u8 v1, v5, s[40:41]
	s_cmp_lg_u32 s14, s12
	s_wait_loadcnt 0x0
	v_and_b32_e32 v4, 0xffff, v1
	s_delay_alu instid0(VALU_DEP_1) | instskip(SKIP_1) | instid1(VALU_DEP_1)
	v_lshlrev_b64_e32 v[14:15], s0, v[4:5]
	s_add_nc_u64 s[0:1], s[0:1], 8
	v_or_b32_e32 v12, v14, v12
	s_delay_alu instid0(VALU_DEP_2)
	v_or_b32_e32 v13, v15, v13
	s_cbranch_scc1 .LBB6_301
.LBB6_302:                              ;   in Loop: Header=BB6_290 Depth=1
	s_wait_xcnt 0x0
	s_mov_b32 s12, 0
	s_mov_b64 s[0:1], s[10:11]
	s_branch .LBB6_304
.LBB6_303:                              ;   in Loop: Header=BB6_290 Depth=1
	s_add_nc_u64 s[0:1], s[10:11], 8
	s_wait_xcnt 0x0
	s_mov_b32 s12, -1
                                        ; implicit-def: $vgpr12_vgpr13
.LBB6_304:                              ;   in Loop: Header=BB6_290 Depth=1
	s_delay_alu instid0(SALU_CYCLE_1)
	s_and_not1_b32 vcc_lo, exec_lo, s12
	s_mov_b32 s15, 0
	s_cbranch_vccnz .LBB6_306
; %bb.305:                              ;   in Loop: Header=BB6_290 Depth=1
	global_load_b64 v[12:13], v5, s[10:11]
	s_add_co_i32 s15, s14, -8
.LBB6_306:                              ;   in Loop: Header=BB6_290 Depth=1
	s_delay_alu instid0(SALU_CYCLE_1)
	s_cmp_gt_u32 s15, 7
	s_cbranch_scc1 .LBB6_311
; %bb.307:                              ;   in Loop: Header=BB6_290 Depth=1
	v_mov_b64_e32 v[14:15], 0
	s_cmp_eq_u32 s15, 0
	s_cbranch_scc1 .LBB6_310
; %bb.308:                              ;   in Loop: Header=BB6_290 Depth=1
	s_wait_xcnt 0x0
	s_mov_b64 s[10:11], 0
	s_mov_b64 s[12:13], 0
.LBB6_309:                              ;   Parent Loop BB6_290 Depth=1
                                        ; =>  This Inner Loop Header: Depth=2
	s_wait_xcnt 0x0
	s_add_nc_u64 s[40:41], s[0:1], s[12:13]
	s_add_nc_u64 s[12:13], s[12:13], 1
	global_load_u8 v1, v5, s[40:41]
	s_cmp_lg_u32 s15, s12
	s_wait_loadcnt 0x0
	v_and_b32_e32 v4, 0xffff, v1
	s_delay_alu instid0(VALU_DEP_1) | instskip(SKIP_1) | instid1(VALU_DEP_1)
	v_lshlrev_b64_e32 v[16:17], s10, v[4:5]
	s_add_nc_u64 s[10:11], s[10:11], 8
	v_or_b32_e32 v14, v16, v14
	s_delay_alu instid0(VALU_DEP_2)
	v_or_b32_e32 v15, v17, v15
	s_cbranch_scc1 .LBB6_309
.LBB6_310:                              ;   in Loop: Header=BB6_290 Depth=1
	s_mov_b32 s12, 0
	s_wait_xcnt 0x0
	s_mov_b64 s[10:11], s[0:1]
	s_branch .LBB6_312
.LBB6_311:                              ;   in Loop: Header=BB6_290 Depth=1
	s_wait_xcnt 0x0
	s_add_nc_u64 s[10:11], s[0:1], 8
	s_mov_b32 s12, -1
.LBB6_312:                              ;   in Loop: Header=BB6_290 Depth=1
	s_delay_alu instid0(SALU_CYCLE_1)
	s_and_not1_b32 vcc_lo, exec_lo, s12
	s_mov_b32 s14, 0
	s_cbranch_vccnz .LBB6_314
; %bb.313:                              ;   in Loop: Header=BB6_290 Depth=1
	global_load_b64 v[14:15], v5, s[0:1]
	s_add_co_i32 s14, s15, -8
.LBB6_314:                              ;   in Loop: Header=BB6_290 Depth=1
	s_delay_alu instid0(SALU_CYCLE_1)
	s_cmp_gt_u32 s14, 7
	s_cbranch_scc1 .LBB6_319
; %bb.315:                              ;   in Loop: Header=BB6_290 Depth=1
	v_mov_b64_e32 v[16:17], 0
	s_cmp_eq_u32 s14, 0
	s_cbranch_scc1 .LBB6_318
; %bb.316:                              ;   in Loop: Header=BB6_290 Depth=1
	s_wait_xcnt 0x0
	s_mov_b64 s[0:1], 0
	s_mov_b64 s[12:13], 0
.LBB6_317:                              ;   Parent Loop BB6_290 Depth=1
                                        ; =>  This Inner Loop Header: Depth=2
	s_wait_xcnt 0x0
	s_add_nc_u64 s[40:41], s[10:11], s[12:13]
	s_add_nc_u64 s[12:13], s[12:13], 1
	global_load_u8 v1, v5, s[40:41]
	s_cmp_lg_u32 s14, s12
	s_wait_loadcnt 0x0
	v_and_b32_e32 v4, 0xffff, v1
	s_delay_alu instid0(VALU_DEP_1) | instskip(SKIP_1) | instid1(VALU_DEP_1)
	v_lshlrev_b64_e32 v[18:19], s0, v[4:5]
	s_add_nc_u64 s[0:1], s[0:1], 8
	v_or_b32_e32 v16, v18, v16
	s_delay_alu instid0(VALU_DEP_2)
	v_or_b32_e32 v17, v19, v17
	s_cbranch_scc1 .LBB6_317
.LBB6_318:                              ;   in Loop: Header=BB6_290 Depth=1
	s_mov_b32 s12, 0
	s_wait_xcnt 0x0
	s_mov_b64 s[0:1], s[10:11]
	s_branch .LBB6_320
.LBB6_319:                              ;   in Loop: Header=BB6_290 Depth=1
	s_wait_xcnt 0x0
	s_add_nc_u64 s[0:1], s[10:11], 8
	s_mov_b32 s12, -1
                                        ; implicit-def: $vgpr16_vgpr17
.LBB6_320:                              ;   in Loop: Header=BB6_290 Depth=1
	s_delay_alu instid0(SALU_CYCLE_1)
	s_and_not1_b32 vcc_lo, exec_lo, s12
	s_mov_b32 s15, 0
	s_cbranch_vccnz .LBB6_322
; %bb.321:                              ;   in Loop: Header=BB6_290 Depth=1
	global_load_b64 v[16:17], v5, s[10:11]
	s_add_co_i32 s15, s14, -8
.LBB6_322:                              ;   in Loop: Header=BB6_290 Depth=1
	s_delay_alu instid0(SALU_CYCLE_1)
	s_cmp_gt_u32 s15, 7
	s_cbranch_scc1 .LBB6_327
; %bb.323:                              ;   in Loop: Header=BB6_290 Depth=1
	v_mov_b64_e32 v[18:19], 0
	s_cmp_eq_u32 s15, 0
	s_cbranch_scc1 .LBB6_326
; %bb.324:                              ;   in Loop: Header=BB6_290 Depth=1
	s_wait_xcnt 0x0
	s_mov_b64 s[10:11], 0
	s_mov_b64 s[12:13], 0
.LBB6_325:                              ;   Parent Loop BB6_290 Depth=1
                                        ; =>  This Inner Loop Header: Depth=2
	s_wait_xcnt 0x0
	s_add_nc_u64 s[40:41], s[0:1], s[12:13]
	s_add_nc_u64 s[12:13], s[12:13], 1
	global_load_u8 v1, v5, s[40:41]
	s_cmp_lg_u32 s15, s12
	s_wait_loadcnt 0x0
	v_and_b32_e32 v4, 0xffff, v1
	s_delay_alu instid0(VALU_DEP_1) | instskip(SKIP_1) | instid1(VALU_DEP_1)
	v_lshlrev_b64_e32 v[20:21], s10, v[4:5]
	s_add_nc_u64 s[10:11], s[10:11], 8
	v_or_b32_e32 v18, v20, v18
	s_delay_alu instid0(VALU_DEP_2)
	v_or_b32_e32 v19, v21, v19
	s_cbranch_scc1 .LBB6_325
.LBB6_326:                              ;   in Loop: Header=BB6_290 Depth=1
	s_mov_b32 s12, 0
	s_wait_xcnt 0x0
	s_mov_b64 s[10:11], s[0:1]
	s_branch .LBB6_328
.LBB6_327:                              ;   in Loop: Header=BB6_290 Depth=1
	s_wait_xcnt 0x0
	s_add_nc_u64 s[10:11], s[0:1], 8
	s_mov_b32 s12, -1
.LBB6_328:                              ;   in Loop: Header=BB6_290 Depth=1
	s_delay_alu instid0(SALU_CYCLE_1)
	s_and_not1_b32 vcc_lo, exec_lo, s12
	s_mov_b32 s14, 0
	s_cbranch_vccnz .LBB6_330
; %bb.329:                              ;   in Loop: Header=BB6_290 Depth=1
	global_load_b64 v[18:19], v5, s[0:1]
	s_add_co_i32 s14, s15, -8
.LBB6_330:                              ;   in Loop: Header=BB6_290 Depth=1
	s_delay_alu instid0(SALU_CYCLE_1)
	s_cmp_gt_u32 s14, 7
	s_cbranch_scc1 .LBB6_335
; %bb.331:                              ;   in Loop: Header=BB6_290 Depth=1
	v_mov_b64_e32 v[20:21], 0
	s_cmp_eq_u32 s14, 0
	s_cbranch_scc1 .LBB6_334
; %bb.332:                              ;   in Loop: Header=BB6_290 Depth=1
	s_wait_xcnt 0x0
	s_mov_b64 s[0:1], 0
	s_mov_b64 s[12:13], 0
.LBB6_333:                              ;   Parent Loop BB6_290 Depth=1
                                        ; =>  This Inner Loop Header: Depth=2
	s_wait_xcnt 0x0
	s_add_nc_u64 s[40:41], s[10:11], s[12:13]
	s_add_nc_u64 s[12:13], s[12:13], 1
	global_load_u8 v1, v5, s[40:41]
	s_cmp_lg_u32 s14, s12
	s_wait_loadcnt 0x0
	v_and_b32_e32 v4, 0xffff, v1
	s_delay_alu instid0(VALU_DEP_1) | instskip(SKIP_1) | instid1(VALU_DEP_1)
	v_lshlrev_b64_e32 v[22:23], s0, v[4:5]
	s_add_nc_u64 s[0:1], s[0:1], 8
	v_or_b32_e32 v20, v22, v20
	s_delay_alu instid0(VALU_DEP_2)
	v_or_b32_e32 v21, v23, v21
	s_cbranch_scc1 .LBB6_333
.LBB6_334:                              ;   in Loop: Header=BB6_290 Depth=1
	s_mov_b32 s12, 0
	s_wait_xcnt 0x0
	s_mov_b64 s[0:1], s[10:11]
	s_branch .LBB6_336
.LBB6_335:                              ;   in Loop: Header=BB6_290 Depth=1
	s_wait_xcnt 0x0
	s_add_nc_u64 s[0:1], s[10:11], 8
	s_mov_b32 s12, -1
                                        ; implicit-def: $vgpr20_vgpr21
.LBB6_336:                              ;   in Loop: Header=BB6_290 Depth=1
	s_delay_alu instid0(SALU_CYCLE_1)
	s_and_not1_b32 vcc_lo, exec_lo, s12
	s_mov_b32 s15, 0
	s_cbranch_vccnz .LBB6_338
; %bb.337:                              ;   in Loop: Header=BB6_290 Depth=1
	global_load_b64 v[20:21], v5, s[10:11]
	s_add_co_i32 s15, s14, -8
.LBB6_338:                              ;   in Loop: Header=BB6_290 Depth=1
	s_delay_alu instid0(SALU_CYCLE_1)
	s_cmp_gt_u32 s15, 7
	s_cbranch_scc1 .LBB6_343
; %bb.339:                              ;   in Loop: Header=BB6_290 Depth=1
	v_mov_b64_e32 v[22:23], 0
	s_cmp_eq_u32 s15, 0
	s_cbranch_scc1 .LBB6_342
; %bb.340:                              ;   in Loop: Header=BB6_290 Depth=1
	s_wait_xcnt 0x0
	s_mov_b64 s[10:11], 0
	s_mov_b64 s[12:13], s[0:1]
.LBB6_341:                              ;   Parent Loop BB6_290 Depth=1
                                        ; =>  This Inner Loop Header: Depth=2
	global_load_u8 v1, v5, s[12:13]
	s_add_co_i32 s15, s15, -1
	s_wait_xcnt 0x0
	s_add_nc_u64 s[12:13], s[12:13], 1
	s_cmp_lg_u32 s15, 0
	s_wait_loadcnt 0x0
	v_and_b32_e32 v4, 0xffff, v1
	s_delay_alu instid0(VALU_DEP_1) | instskip(SKIP_1) | instid1(VALU_DEP_1)
	v_lshlrev_b64_e32 v[24:25], s10, v[4:5]
	s_add_nc_u64 s[10:11], s[10:11], 8
	v_or_b32_e32 v22, v24, v22
	s_delay_alu instid0(VALU_DEP_2)
	v_or_b32_e32 v23, v25, v23
	s_cbranch_scc1 .LBB6_341
.LBB6_342:                              ;   in Loop: Header=BB6_290 Depth=1
	s_wait_xcnt 0x0
	s_mov_b32 s10, 0
	s_branch .LBB6_344
.LBB6_343:                              ;   in Loop: Header=BB6_290 Depth=1
	s_wait_xcnt 0x0
	s_mov_b32 s10, -1
.LBB6_344:                              ;   in Loop: Header=BB6_290 Depth=1
	s_delay_alu instid0(SALU_CYCLE_1)
	s_and_not1_b32 vcc_lo, exec_lo, s10
	s_cbranch_vccnz .LBB6_346
; %bb.345:                              ;   in Loop: Header=BB6_290 Depth=1
	global_load_b64 v[22:23], v5, s[0:1]
.LBB6_346:                              ;   in Loop: Header=BB6_290 Depth=1
	s_wait_xcnt 0x0
	v_readfirstlane_b32 s0, v32
	v_mov_b64_e32 v[28:29], 0
	s_delay_alu instid0(VALU_DEP_2)
	v_cmp_eq_u32_e64 s0, s0, v32
	s_and_saveexec_b32 s1, s0
	s_cbranch_execz .LBB6_352
; %bb.347:                              ;   in Loop: Header=BB6_290 Depth=1
	global_load_b64 v[26:27], v5, s[2:3] offset:24 scope:SCOPE_SYS
	s_wait_loadcnt 0x0
	global_inv scope:SCOPE_SYS
	s_clause 0x1
	global_load_b64 v[24:25], v5, s[2:3] offset:40
	global_load_b64 v[28:29], v5, s[2:3]
	s_mov_b32 s10, exec_lo
	s_wait_loadcnt 0x1
	v_and_b32_e32 v24, v24, v26
	v_and_b32_e32 v25, v25, v27
	s_delay_alu instid0(VALU_DEP_1) | instskip(SKIP_1) | instid1(VALU_DEP_1)
	v_mul_u64_e32 v[24:25], 24, v[24:25]
	s_wait_loadcnt 0x0
	v_add_nc_u64_e32 v[24:25], v[28:29], v[24:25]
	global_load_b64 v[24:25], v[24:25], off scope:SCOPE_SYS
	s_wait_xcnt 0x0
	s_wait_loadcnt 0x0
	global_atomic_cmpswap_b64 v[28:29], v5, v[24:27], s[2:3] offset:24 th:TH_ATOMIC_RETURN scope:SCOPE_SYS
	s_wait_loadcnt 0x0
	global_inv scope:SCOPE_SYS
	s_wait_xcnt 0x0
	v_cmpx_ne_u64_e64 v[28:29], v[26:27]
	s_cbranch_execz .LBB6_351
; %bb.348:                              ;   in Loop: Header=BB6_290 Depth=1
	s_mov_b32 s11, 0
.LBB6_349:                              ;   Parent Loop BB6_290 Depth=1
                                        ; =>  This Inner Loop Header: Depth=2
	s_sleep 1
	s_clause 0x1
	global_load_b64 v[24:25], v5, s[2:3] offset:40
	global_load_b64 v[30:31], v5, s[2:3]
	v_mov_b64_e32 v[26:27], v[28:29]
	s_wait_loadcnt 0x1
	s_delay_alu instid0(VALU_DEP_1) | instskip(SKIP_1) | instid1(VALU_DEP_1)
	v_and_b32_e32 v1, v24, v26
	s_wait_loadcnt 0x0
	v_mad_nc_u64_u32 v[28:29], v1, 24, v[30:31]
	s_delay_alu instid0(VALU_DEP_3) | instskip(NEXT) | instid1(VALU_DEP_1)
	v_and_b32_e32 v1, v25, v27
	v_mad_u32 v29, v1, 24, v29
	global_load_b64 v[24:25], v[28:29], off scope:SCOPE_SYS
	s_wait_xcnt 0x0
	s_wait_loadcnt 0x0
	global_atomic_cmpswap_b64 v[28:29], v5, v[24:27], s[2:3] offset:24 th:TH_ATOMIC_RETURN scope:SCOPE_SYS
	s_wait_loadcnt 0x0
	global_inv scope:SCOPE_SYS
	v_cmp_eq_u64_e32 vcc_lo, v[28:29], v[26:27]
	s_or_b32 s11, vcc_lo, s11
	s_wait_xcnt 0x0
	s_and_not1_b32 exec_lo, exec_lo, s11
	s_cbranch_execnz .LBB6_349
; %bb.350:                              ;   in Loop: Header=BB6_290 Depth=1
	s_or_b32 exec_lo, exec_lo, s11
.LBB6_351:                              ;   in Loop: Header=BB6_290 Depth=1
	s_delay_alu instid0(SALU_CYCLE_1)
	s_or_b32 exec_lo, exec_lo, s10
.LBB6_352:                              ;   in Loop: Header=BB6_290 Depth=1
	s_delay_alu instid0(SALU_CYCLE_1)
	s_or_b32 exec_lo, exec_lo, s1
	s_clause 0x1
	global_load_b64 v[30:31], v5, s[2:3] offset:40
	global_load_b128 v[24:27], v5, s[2:3]
	v_readfirstlane_b32 s10, v28
	v_readfirstlane_b32 s11, v29
	s_mov_b32 s1, exec_lo
	s_wait_loadcnt 0x1
	v_and_b32_e32 v30, s10, v30
	v_and_b32_e32 v31, s11, v31
	s_delay_alu instid0(VALU_DEP_1) | instskip(SKIP_1) | instid1(VALU_DEP_1)
	v_mul_u64_e32 v[28:29], 24, v[30:31]
	s_wait_loadcnt 0x0
	v_add_nc_u64_e32 v[28:29], v[24:25], v[28:29]
	s_wait_xcnt 0x0
	s_and_saveexec_b32 s12, s0
	s_cbranch_execz .LBB6_354
; %bb.353:                              ;   in Loop: Header=BB6_290 Depth=1
	v_mov_b32_e32 v4, s1
	global_store_b128 v[28:29], v[4:7], off offset:8
.LBB6_354:                              ;   in Loop: Header=BB6_290 Depth=1
	s_wait_xcnt 0x0
	s_or_b32 exec_lo, exec_lo, s12
	v_cmp_gt_u64_e64 s1, s[6:7], 56
	v_lshlrev_b64_e32 v[30:31], 12, v[30:31]
	v_and_b32_e32 v1, 0xffffff1f, v8
	s_and_b32 s1, s1, exec_lo
	s_delay_alu instid0(VALU_DEP_2) | instskip(SKIP_4) | instid1(VALU_DEP_2)
	v_add_nc_u64_e32 v[26:27], v[26:27], v[30:31]
	s_cselect_b32 s1, 0, 2
	s_lshl_b32 s12, s8, 2
	v_or_b32_e32 v1, s1, v1
	s_add_co_i32 s1, s12, 28
	v_readfirstlane_b32 s12, v26
	s_delay_alu instid0(VALU_DEP_3) | instskip(NEXT) | instid1(VALU_DEP_3)
	v_readfirstlane_b32 s13, v27
	v_and_or_b32 v8, 0x1e0, s1, v1
	s_clause 0x3
	global_store_b128 v0, v[8:11], s[12:13]
	global_store_b128 v0, v[12:15], s[12:13] offset:16
	global_store_b128 v0, v[16:19], s[12:13] offset:32
	;; [unrolled: 1-line block ×3, first 2 shown]
	s_wait_xcnt 0x0
	s_and_saveexec_b32 s1, s0
	s_cbranch_execz .LBB6_362
; %bb.355:                              ;   in Loop: Header=BB6_290 Depth=1
	s_clause 0x1
	global_load_b64 v[16:17], v5, s[2:3] offset:32 scope:SCOPE_SYS
	global_load_b64 v[8:9], v5, s[2:3] offset:40
	s_mov_b32 s12, exec_lo
	v_dual_mov_b32 v14, s10 :: v_dual_mov_b32 v15, s11
	s_wait_loadcnt 0x0
	v_and_b32_e32 v9, s11, v9
	v_and_b32_e32 v8, s10, v8
	s_delay_alu instid0(VALU_DEP_1) | instskip(NEXT) | instid1(VALU_DEP_1)
	v_mul_u64_e32 v[8:9], 24, v[8:9]
	v_add_nc_u64_e32 v[12:13], v[24:25], v[8:9]
	global_store_b64 v[12:13], v[16:17], off
	global_wb scope:SCOPE_SYS
	s_wait_storecnt 0x0
	s_wait_xcnt 0x0
	global_atomic_cmpswap_b64 v[10:11], v5, v[14:17], s[2:3] offset:32 th:TH_ATOMIC_RETURN scope:SCOPE_SYS
	s_wait_loadcnt 0x0
	v_cmpx_ne_u64_e64 v[10:11], v[16:17]
	s_cbranch_execz .LBB6_358
; %bb.356:                              ;   in Loop: Header=BB6_290 Depth=1
	s_mov_b32 s13, 0
.LBB6_357:                              ;   Parent Loop BB6_290 Depth=1
                                        ; =>  This Inner Loop Header: Depth=2
	v_dual_mov_b32 v8, s10 :: v_dual_mov_b32 v9, s11
	s_sleep 1
	global_store_b64 v[12:13], v[10:11], off
	global_wb scope:SCOPE_SYS
	s_wait_storecnt 0x0
	s_wait_xcnt 0x0
	global_atomic_cmpswap_b64 v[8:9], v5, v[8:11], s[2:3] offset:32 th:TH_ATOMIC_RETURN scope:SCOPE_SYS
	s_wait_loadcnt 0x0
	v_cmp_eq_u64_e32 vcc_lo, v[8:9], v[10:11]
	v_mov_b64_e32 v[10:11], v[8:9]
	s_or_b32 s13, vcc_lo, s13
	s_delay_alu instid0(SALU_CYCLE_1)
	s_and_not1_b32 exec_lo, exec_lo, s13
	s_cbranch_execnz .LBB6_357
.LBB6_358:                              ;   in Loop: Header=BB6_290 Depth=1
	s_or_b32 exec_lo, exec_lo, s12
	global_load_b64 v[8:9], v5, s[2:3] offset:16
	s_mov_b32 s13, exec_lo
	s_mov_b32 s12, exec_lo
	v_mbcnt_lo_u32_b32 v1, s13, 0
	s_wait_xcnt 0x0
	s_delay_alu instid0(VALU_DEP_1)
	v_cmpx_eq_u32_e32 0, v1
	s_cbranch_execz .LBB6_360
; %bb.359:                              ;   in Loop: Header=BB6_290 Depth=1
	s_bcnt1_i32_b32 s13, s13
	s_delay_alu instid0(SALU_CYCLE_1)
	v_mov_b32_e32 v4, s13
	global_wb scope:SCOPE_SYS
	s_wait_loadcnt 0x0
	s_wait_storecnt 0x0
	global_atomic_add_u64 v[8:9], v[4:5], off offset:8 scope:SCOPE_SYS
.LBB6_360:                              ;   in Loop: Header=BB6_290 Depth=1
	s_wait_xcnt 0x0
	s_or_b32 exec_lo, exec_lo, s12
	s_wait_loadcnt 0x0
	global_load_b64 v[10:11], v[8:9], off offset:16
	s_wait_loadcnt 0x0
	v_cmp_eq_u64_e32 vcc_lo, 0, v[10:11]
	s_cbranch_vccnz .LBB6_362
; %bb.361:                              ;   in Loop: Header=BB6_290 Depth=1
	global_load_b32 v4, v[8:9], off offset:24
	s_wait_loadcnt 0x0
	v_readfirstlane_b32 s12, v4
	global_wb scope:SCOPE_SYS
	s_wait_storecnt 0x0
	s_wait_xcnt 0x0
	global_store_b64 v[10:11], v[4:5], off scope:SCOPE_SYS
	s_and_b32 m0, s12, 0xffffff
	s_sendmsg sendmsg(MSG_INTERRUPT)
.LBB6_362:                              ;   in Loop: Header=BB6_290 Depth=1
	s_wait_xcnt 0x0
	s_or_b32 exec_lo, exec_lo, s1
	v_mov_b32_e32 v1, v5
	s_delay_alu instid0(VALU_DEP_1)
	v_add_nc_u64_e32 v[8:9], v[26:27], v[0:1]
	s_branch .LBB6_366
.LBB6_363:                              ;   in Loop: Header=BB6_366 Depth=2
	s_wait_xcnt 0x0
	s_or_b32 exec_lo, exec_lo, s1
	s_delay_alu instid0(VALU_DEP_1)
	v_readfirstlane_b32 s1, v1
	s_cmp_eq_u32 s1, 0
	s_cbranch_scc1 .LBB6_365
; %bb.364:                              ;   in Loop: Header=BB6_366 Depth=2
	s_sleep 1
	s_cbranch_execnz .LBB6_366
	s_branch .LBB6_368
.LBB6_365:                              ;   in Loop: Header=BB6_290 Depth=1
	s_branch .LBB6_368
.LBB6_366:                              ;   Parent Loop BB6_290 Depth=1
                                        ; =>  This Inner Loop Header: Depth=2
	v_mov_b32_e32 v1, 1
	s_and_saveexec_b32 s1, s0
	s_cbranch_execz .LBB6_363
; %bb.367:                              ;   in Loop: Header=BB6_366 Depth=2
	global_load_b32 v1, v[28:29], off offset:20 scope:SCOPE_SYS
	s_wait_loadcnt 0x0
	global_inv scope:SCOPE_SYS
	v_and_b32_e32 v1, 1, v1
	s_branch .LBB6_363
.LBB6_368:                              ;   in Loop: Header=BB6_290 Depth=1
	global_load_b128 v[8:11], v[8:9], off
	s_wait_xcnt 0x0
	s_and_saveexec_b32 s12, s0
	s_cbranch_execz .LBB6_289
; %bb.369:                              ;   in Loop: Header=BB6_290 Depth=1
	s_wait_loadcnt 0x0
	s_clause 0x2
	global_load_b64 v[10:11], v5, s[2:3] offset:40
	global_load_b64 v[18:19], v5, s[2:3] offset:24 scope:SCOPE_SYS
	global_load_b64 v[12:13], v5, s[2:3]
	s_wait_loadcnt 0x2
	v_readfirstlane_b32 s14, v10
	v_readfirstlane_b32 s15, v11
	s_add_nc_u64 s[0:1], s[14:15], 1
	s_delay_alu instid0(SALU_CYCLE_1) | instskip(NEXT) | instid1(SALU_CYCLE_1)
	s_add_nc_u64 s[10:11], s[0:1], s[10:11]
	s_cmp_eq_u64 s[10:11], 0
	s_cselect_b32 s1, s1, s11
	s_cselect_b32 s0, s0, s10
	s_delay_alu instid0(SALU_CYCLE_1) | instskip(SKIP_1) | instid1(SALU_CYCLE_1)
	v_dual_mov_b32 v17, s1 :: v_dual_mov_b32 v16, s0
	s_and_b64 s[10:11], s[0:1], s[14:15]
	s_mul_u64 s[10:11], s[10:11], 24
	s_wait_loadcnt 0x0
	v_add_nc_u64_e32 v[14:15], s[10:11], v[12:13]
	global_store_b64 v[14:15], v[18:19], off
	global_wb scope:SCOPE_SYS
	s_wait_storecnt 0x0
	s_wait_xcnt 0x0
	global_atomic_cmpswap_b64 v[12:13], v5, v[16:19], s[2:3] offset:24 th:TH_ATOMIC_RETURN scope:SCOPE_SYS
	s_wait_loadcnt 0x0
	v_cmp_ne_u64_e32 vcc_lo, v[12:13], v[18:19]
	s_and_b32 exec_lo, exec_lo, vcc_lo
	s_cbranch_execz .LBB6_289
; %bb.370:                              ;   in Loop: Header=BB6_290 Depth=1
	s_mov_b32 s10, 0
.LBB6_371:                              ;   Parent Loop BB6_290 Depth=1
                                        ; =>  This Inner Loop Header: Depth=2
	v_dual_mov_b32 v10, s0 :: v_dual_mov_b32 v11, s1
	s_sleep 1
	global_store_b64 v[14:15], v[12:13], off
	global_wb scope:SCOPE_SYS
	s_wait_storecnt 0x0
	s_wait_xcnt 0x0
	global_atomic_cmpswap_b64 v[10:11], v5, v[10:13], s[2:3] offset:24 th:TH_ATOMIC_RETURN scope:SCOPE_SYS
	s_wait_loadcnt 0x0
	v_cmp_eq_u64_e32 vcc_lo, v[10:11], v[12:13]
	v_mov_b64_e32 v[12:13], v[10:11]
	s_or_b32 s10, vcc_lo, s10
	s_delay_alu instid0(SALU_CYCLE_1)
	s_and_not1_b32 exec_lo, exec_lo, s10
	s_cbranch_execnz .LBB6_371
	s_branch .LBB6_289
.LBB6_372:
	s_mov_b32 s0, 0
	s_branch .LBB6_374
.LBB6_373:
	s_mov_b32 s0, -1
.LBB6_374:
	s_delay_alu instid0(SALU_CYCLE_1)
	s_and_b32 vcc_lo, exec_lo, s0
	s_cbranch_vccz .LBB6_402
; %bb.375:
	v_readfirstlane_b32 s0, v32
	s_wait_loadcnt 0x0
	v_mov_b64_e32 v[10:11], 0
	s_delay_alu instid0(VALU_DEP_2)
	v_cmp_eq_u32_e64 s0, s0, v32
	s_and_saveexec_b32 s1, s0
	s_cbranch_execz .LBB6_381
; %bb.376:
	v_mov_b32_e32 v1, 0
	s_mov_b32 s4, exec_lo
	global_load_b64 v[6:7], v1, s[2:3] offset:24 scope:SCOPE_SYS
	s_wait_loadcnt 0x0
	global_inv scope:SCOPE_SYS
	s_clause 0x1
	global_load_b64 v[4:5], v1, s[2:3] offset:40
	global_load_b64 v[8:9], v1, s[2:3]
	s_wait_loadcnt 0x1
	v_and_b32_e32 v4, v4, v6
	v_and_b32_e32 v5, v5, v7
	s_delay_alu instid0(VALU_DEP_1) | instskip(SKIP_1) | instid1(VALU_DEP_1)
	v_mul_u64_e32 v[4:5], 24, v[4:5]
	s_wait_loadcnt 0x0
	v_add_nc_u64_e32 v[4:5], v[8:9], v[4:5]
	global_load_b64 v[4:5], v[4:5], off scope:SCOPE_SYS
	s_wait_xcnt 0x0
	s_wait_loadcnt 0x0
	global_atomic_cmpswap_b64 v[10:11], v1, v[4:7], s[2:3] offset:24 th:TH_ATOMIC_RETURN scope:SCOPE_SYS
	s_wait_loadcnt 0x0
	global_inv scope:SCOPE_SYS
	s_wait_xcnt 0x0
	v_cmpx_ne_u64_e64 v[10:11], v[6:7]
	s_cbranch_execz .LBB6_380
; %bb.377:
	s_mov_b32 s5, 0
.LBB6_378:                              ; =>This Inner Loop Header: Depth=1
	s_sleep 1
	s_clause 0x1
	global_load_b64 v[4:5], v1, s[2:3] offset:40
	global_load_b64 v[8:9], v1, s[2:3]
	v_mov_b64_e32 v[6:7], v[10:11]
	s_wait_loadcnt 0x1
	s_delay_alu instid0(VALU_DEP_1) | instskip(SKIP_1) | instid1(VALU_DEP_1)
	v_and_b32_e32 v4, v4, v6
	s_wait_loadcnt 0x0
	v_mad_nc_u64_u32 v[8:9], v4, 24, v[8:9]
	s_delay_alu instid0(VALU_DEP_3) | instskip(NEXT) | instid1(VALU_DEP_1)
	v_and_b32_e32 v4, v5, v7
	v_mad_u32 v9, v4, 24, v9
	global_load_b64 v[4:5], v[8:9], off scope:SCOPE_SYS
	s_wait_xcnt 0x0
	s_wait_loadcnt 0x0
	global_atomic_cmpswap_b64 v[10:11], v1, v[4:7], s[2:3] offset:24 th:TH_ATOMIC_RETURN scope:SCOPE_SYS
	s_wait_loadcnt 0x0
	global_inv scope:SCOPE_SYS
	v_cmp_eq_u64_e32 vcc_lo, v[10:11], v[6:7]
	s_or_b32 s5, vcc_lo, s5
	s_wait_xcnt 0x0
	s_and_not1_b32 exec_lo, exec_lo, s5
	s_cbranch_execnz .LBB6_378
; %bb.379:
	s_or_b32 exec_lo, exec_lo, s5
.LBB6_380:
	s_delay_alu instid0(SALU_CYCLE_1)
	s_or_b32 exec_lo, exec_lo, s4
.LBB6_381:
	s_delay_alu instid0(SALU_CYCLE_1)
	s_or_b32 exec_lo, exec_lo, s1
	v_readfirstlane_b32 s4, v10
	v_mov_b32_e32 v4, 0
	v_readfirstlane_b32 s5, v11
	s_mov_b32 s1, exec_lo
	s_clause 0x1
	global_load_b64 v[12:13], v4, s[2:3] offset:40
	global_load_b128 v[6:9], v4, s[2:3]
	s_wait_loadcnt 0x1
	v_and_b32_e32 v12, s4, v12
	v_and_b32_e32 v13, s5, v13
	s_delay_alu instid0(VALU_DEP_1) | instskip(SKIP_1) | instid1(VALU_DEP_1)
	v_mul_u64_e32 v[10:11], 24, v[12:13]
	s_wait_loadcnt 0x0
	v_add_nc_u64_e32 v[10:11], v[6:7], v[10:11]
	s_wait_xcnt 0x0
	s_and_saveexec_b32 s6, s0
	s_cbranch_execz .LBB6_383
; %bb.382:
	v_mov_b64_e32 v[16:17], 0x100000002
	v_dual_mov_b32 v14, s1 :: v_dual_mov_b32 v15, v4
	global_store_b128 v[10:11], v[14:17], off offset:8
.LBB6_383:
	s_wait_xcnt 0x0
	s_or_b32 exec_lo, exec_lo, s6
	v_lshlrev_b64_e32 v[12:13], 12, v[12:13]
	s_mov_b32 s8, 0
	v_and_or_b32 v2, 0xffffff1d, v2, 34
	s_mov_b32 s10, s8
	s_mov_b32 s11, s8
	;; [unrolled: 1-line block ×3, first 2 shown]
	v_mov_b32_e32 v5, v4
	v_add_nc_u64_e32 v[8:9], v[8:9], v[12:13]
	v_mov_b64_e32 v[14:15], s[10:11]
	v_mov_b64_e32 v[12:13], s[8:9]
	s_delay_alu instid0(VALU_DEP_3) | instskip(NEXT) | instid1(VALU_DEP_4)
	v_readfirstlane_b32 s6, v8
	v_readfirstlane_b32 s7, v9
	s_clause 0x3
	global_store_b128 v0, v[2:5], s[6:7]
	global_store_b128 v0, v[12:15], s[6:7] offset:16
	global_store_b128 v0, v[12:15], s[6:7] offset:32
	;; [unrolled: 1-line block ×3, first 2 shown]
	s_wait_xcnt 0x0
	s_and_saveexec_b32 s1, s0
	s_cbranch_execz .LBB6_391
; %bb.384:
	v_dual_mov_b32 v8, 0 :: v_dual_mov_b32 v13, s5
	s_mov_b32 s6, exec_lo
	s_clause 0x1
	global_load_b64 v[14:15], v8, s[2:3] offset:32 scope:SCOPE_SYS
	global_load_b64 v[0:1], v8, s[2:3] offset:40
	s_wait_loadcnt 0x0
	v_dual_mov_b32 v12, s4 :: v_dual_bitop2_b32 v1, s5, v1 bitop3:0x40
	v_and_b32_e32 v0, s4, v0
	s_delay_alu instid0(VALU_DEP_1) | instskip(NEXT) | instid1(VALU_DEP_1)
	v_mul_u64_e32 v[0:1], 24, v[0:1]
	v_add_nc_u64_e32 v[4:5], v[6:7], v[0:1]
	global_store_b64 v[4:5], v[14:15], off
	global_wb scope:SCOPE_SYS
	s_wait_storecnt 0x0
	s_wait_xcnt 0x0
	global_atomic_cmpswap_b64 v[2:3], v8, v[12:15], s[2:3] offset:32 th:TH_ATOMIC_RETURN scope:SCOPE_SYS
	s_wait_loadcnt 0x0
	v_cmpx_ne_u64_e64 v[2:3], v[14:15]
	s_cbranch_execz .LBB6_387
; %bb.385:
	s_mov_b32 s7, 0
.LBB6_386:                              ; =>This Inner Loop Header: Depth=1
	v_dual_mov_b32 v0, s4 :: v_dual_mov_b32 v1, s5
	s_sleep 1
	global_store_b64 v[4:5], v[2:3], off
	global_wb scope:SCOPE_SYS
	s_wait_storecnt 0x0
	s_wait_xcnt 0x0
	global_atomic_cmpswap_b64 v[0:1], v8, v[0:3], s[2:3] offset:32 th:TH_ATOMIC_RETURN scope:SCOPE_SYS
	s_wait_loadcnt 0x0
	v_cmp_eq_u64_e32 vcc_lo, v[0:1], v[2:3]
	v_mov_b64_e32 v[2:3], v[0:1]
	s_or_b32 s7, vcc_lo, s7
	s_delay_alu instid0(SALU_CYCLE_1)
	s_and_not1_b32 exec_lo, exec_lo, s7
	s_cbranch_execnz .LBB6_386
.LBB6_387:
	s_or_b32 exec_lo, exec_lo, s6
	v_mov_b32_e32 v3, 0
	s_mov_b32 s7, exec_lo
	s_mov_b32 s6, exec_lo
	v_mbcnt_lo_u32_b32 v2, s7, 0
	global_load_b64 v[0:1], v3, s[2:3] offset:16
	s_wait_xcnt 0x0
	v_cmpx_eq_u32_e32 0, v2
	s_cbranch_execz .LBB6_389
; %bb.388:
	s_bcnt1_i32_b32 s7, s7
	s_delay_alu instid0(SALU_CYCLE_1)
	v_mov_b32_e32 v2, s7
	global_wb scope:SCOPE_SYS
	s_wait_loadcnt 0x0
	s_wait_storecnt 0x0
	global_atomic_add_u64 v[0:1], v[2:3], off offset:8 scope:SCOPE_SYS
.LBB6_389:
	s_wait_xcnt 0x0
	s_or_b32 exec_lo, exec_lo, s6
	s_wait_loadcnt 0x0
	global_load_b64 v[2:3], v[0:1], off offset:16
	s_wait_loadcnt 0x0
	v_cmp_eq_u64_e32 vcc_lo, 0, v[2:3]
	s_cbranch_vccnz .LBB6_391
; %bb.390:
	global_load_b32 v0, v[0:1], off offset:24
	s_wait_xcnt 0x0
	v_mov_b32_e32 v1, 0
	s_wait_loadcnt 0x0
	v_readfirstlane_b32 s6, v0
	global_wb scope:SCOPE_SYS
	s_wait_storecnt 0x0
	global_store_b64 v[2:3], v[0:1], off scope:SCOPE_SYS
	s_and_b32 m0, s6, 0xffffff
	s_sendmsg sendmsg(MSG_INTERRUPT)
.LBB6_391:
	s_wait_xcnt 0x0
	s_or_b32 exec_lo, exec_lo, s1
	s_branch .LBB6_395
.LBB6_392:                              ;   in Loop: Header=BB6_395 Depth=1
	s_wait_xcnt 0x0
	s_or_b32 exec_lo, exec_lo, s1
	s_delay_alu instid0(VALU_DEP_1)
	v_readfirstlane_b32 s1, v0
	s_cmp_eq_u32 s1, 0
	s_cbranch_scc1 .LBB6_394
; %bb.393:                              ;   in Loop: Header=BB6_395 Depth=1
	s_sleep 1
	s_cbranch_execnz .LBB6_395
	s_branch .LBB6_397
.LBB6_394:
	s_branch .LBB6_397
.LBB6_395:                              ; =>This Inner Loop Header: Depth=1
	v_mov_b32_e32 v0, 1
	s_and_saveexec_b32 s1, s0
	s_cbranch_execz .LBB6_392
; %bb.396:                              ;   in Loop: Header=BB6_395 Depth=1
	global_load_b32 v0, v[10:11], off offset:20 scope:SCOPE_SYS
	s_wait_loadcnt 0x0
	global_inv scope:SCOPE_SYS
	v_and_b32_e32 v0, 1, v0
	s_branch .LBB6_392
.LBB6_397:
	s_and_saveexec_b32 s6, s0
	s_cbranch_execz .LBB6_401
; %bb.398:
	v_mov_b32_e32 v6, 0
	s_clause 0x2
	global_load_b64 v[0:1], v6, s[2:3] offset:40
	global_load_b64 v[10:11], v6, s[2:3] offset:24 scope:SCOPE_SYS
	global_load_b64 v[2:3], v6, s[2:3]
	s_wait_loadcnt 0x2
	v_readfirstlane_b32 s8, v0
	v_readfirstlane_b32 s9, v1
	s_add_nc_u64 s[0:1], s[8:9], 1
	s_delay_alu instid0(SALU_CYCLE_1) | instskip(NEXT) | instid1(SALU_CYCLE_1)
	s_add_nc_u64 s[4:5], s[0:1], s[4:5]
	s_cmp_eq_u64 s[4:5], 0
	s_cselect_b32 s1, s1, s5
	s_cselect_b32 s0, s0, s4
	v_mov_b32_e32 v9, s1
	s_and_b64 s[4:5], s[0:1], s[8:9]
	v_mov_b32_e32 v8, s0
	s_mul_u64 s[4:5], s[4:5], 24
	s_wait_loadcnt 0x0
	v_add_nc_u64_e32 v[4:5], s[4:5], v[2:3]
	global_store_b64 v[4:5], v[10:11], off
	global_wb scope:SCOPE_SYS
	s_wait_storecnt 0x0
	s_wait_xcnt 0x0
	global_atomic_cmpswap_b64 v[2:3], v6, v[8:11], s[2:3] offset:24 th:TH_ATOMIC_RETURN scope:SCOPE_SYS
	s_wait_loadcnt 0x0
	v_cmp_ne_u64_e32 vcc_lo, v[2:3], v[10:11]
	s_and_b32 exec_lo, exec_lo, vcc_lo
	s_cbranch_execz .LBB6_401
; %bb.399:
	s_mov_b32 s4, 0
.LBB6_400:                              ; =>This Inner Loop Header: Depth=1
	v_dual_mov_b32 v0, s0 :: v_dual_mov_b32 v1, s1
	s_sleep 1
	global_store_b64 v[4:5], v[2:3], off
	global_wb scope:SCOPE_SYS
	s_wait_storecnt 0x0
	s_wait_xcnt 0x0
	global_atomic_cmpswap_b64 v[0:1], v6, v[0:3], s[2:3] offset:24 th:TH_ATOMIC_RETURN scope:SCOPE_SYS
	s_wait_loadcnt 0x0
	v_cmp_eq_u64_e32 vcc_lo, v[0:1], v[2:3]
	v_mov_b64_e32 v[2:3], v[0:1]
	s_or_b32 s4, vcc_lo, s4
	s_delay_alu instid0(SALU_CYCLE_1)
	s_and_not1_b32 exec_lo, exec_lo, s4
	s_cbranch_execnz .LBB6_400
.LBB6_401:
	s_or_b32 exec_lo, exec_lo, s6
.LBB6_402:
	s_get_pc_i64 s[0:1]
	s_add_nc_u64 s[0:1], s[0:1], .str.29@rel64+4
	s_get_pc_i64 s[2:3]
	s_add_nc_u64 s[2:3], s[2:3], .str.19@rel64+4
	s_get_pc_i64 s[4:5]
	s_add_nc_u64 s[4:5], s[4:5], __PRETTY_FUNCTION__._ZN7VecsMemIjLi8192EE5fetchEi@rel64+4
	v_dual_mov_b32 v0, s0 :: v_dual_mov_b32 v1, s1
	s_wait_loadcnt 0x0
	v_dual_mov_b32 v2, s2 :: v_dual_mov_b32 v3, s3
	v_dual_mov_b32 v4, 12 :: v_dual_mov_b32 v5, s4
	v_mov_b32_e32 v6, s5
	s_get_pc_i64 s[6:7]
	s_add_nc_u64 s[6:7], s[6:7], __assert_fail@rel64+4
	s_mov_b64 s[8:9], s[52:53]
	s_swap_pc_i64 s[30:31], s[6:7]
	s_or_b32 s0, s18, exec_lo
.LBB6_403:
	s_or_b32 exec_lo, exec_lo, s26
	s_delay_alu instid0(SALU_CYCLE_1) | instskip(SKIP_1) | instid1(SALU_CYCLE_1)
	s_and_not1_b32 s1, s18, exec_lo
	s_and_b32 s0, s0, exec_lo
	s_or_b32 s26, s1, s0
	s_or_not1_b32 s0, s25, exec_lo
.LBB6_404:
	s_or_b32 exec_lo, exec_lo, s24
	s_mov_b32 s1, 0
	s_and_saveexec_b32 s24, s0
	s_cbranch_execz .LBB6_416
; %bb.405:
	v_mov_b32_e32 v0, 0
	s_mov_b32 s0, exec_lo
	scratch_store_b64 off, v[82:83], s33 offset:168
	s_wait_xcnt 0x0
	v_cmpx_lt_i32_e32 0, v58
	s_cbranch_execz .LBB6_413
; %bb.406:
	v_mov_b64_e32 v[2:3], v[66:67]
	v_dual_mov_b32 v4, 0 :: v_dual_mov_b32 v0, 0
	s_mov_b32 s2, 0
	s_branch .LBB6_408
.LBB6_407:                              ;   in Loop: Header=BB6_408 Depth=1
	s_wait_xcnt 0x0
	s_or_b32 exec_lo, exec_lo, s3
	flat_load_b32 v58, v[64:65] offset:4
	s_add_co_i32 s2, s2, 1
	v_add_nc_u64_e32 v[2:3], 4, v[2:3]
	s_wait_loadcnt_dscnt 0x0
	v_cmp_ge_i32_e32 vcc_lo, s2, v58
	s_or_b32 s1, vcc_lo, s1
	s_wait_xcnt 0x0
	s_and_not1_b32 exec_lo, exec_lo, s1
	s_cbranch_execz .LBB6_412
.LBB6_408:                              ; =>This Inner Loop Header: Depth=1
	flat_load_b32 v5, v[2:3]
	s_mov_b32 s3, exec_lo
	s_wait_loadcnt_dscnt 0x0
	v_cmpx_gt_i32_e32 0, v5
	s_xor_b32 s3, exec_lo, s3
	s_cbranch_execz .LBB6_410
; %bb.409:                              ;   in Loop: Header=BB6_408 Depth=1
	v_and_b32_e32 v1, 0x7fffffff, v5
                                        ; implicit-def: $vgpr5
	flat_store_b32 v[2:3], v1
.LBB6_410:                              ;   in Loop: Header=BB6_408 Depth=1
	s_wait_xcnt 0x0
	s_and_not1_saveexec_b32 s3, s3
	s_cbranch_execz .LBB6_407
; %bb.411:                              ;   in Loop: Header=BB6_408 Depth=1
	v_dual_ashrrev_i32 v1, 31, v0 :: v_dual_add_nc_u32 v4, 1, v0
	s_delay_alu instid0(VALU_DEP_1) | instskip(NEXT) | instid1(VALU_DEP_2)
	v_lshl_add_u64 v[6:7], v[0:1], 2, v[82:83]
	v_mov_b32_e32 v0, v4
	flat_store_b32 v[6:7], v5
	s_branch .LBB6_407
.LBB6_412:
	s_or_b32 exec_lo, exec_lo, s1
	scratch_store_b32 off, v4, s33 offset:164
.LBB6_413:
	s_wait_xcnt 0x0
	s_or_b32 exec_lo, exec_lo, s0
	s_mov_b32 s0, -1
	s_mov_b32 s1, s26
	s_mov_b32 s2, exec_lo
	v_cmpx_ne_u32_e64 v80, v0
	s_xor_b32 s25, exec_lo, s2
	s_cbranch_execz .LBB6_415
; %bb.414:
	s_get_pc_i64 s[0:1]
	s_add_nc_u64 s[0:1], s[0:1], .str.40@rel64+4
	s_get_pc_i64 s[2:3]
	s_add_nc_u64 s[2:3], s[2:3], .str.31@rel64+4
	s_get_pc_i64 s[4:5]
	s_add_nc_u64 s[4:5], s[4:5], __PRETTY_FUNCTION__._ZN3sop17sopDivideInternalEPNS_3SopES1_S1_S1_P7VecsMemIjLi8192EE@rel64+4
	v_dual_mov_b32 v0, s0 :: v_dual_mov_b32 v1, s1
	v_dual_mov_b32 v2, s2 :: v_dual_mov_b32 v3, s3
	;; [unrolled: 1-line block ×3, first 2 shown]
	v_mov_b32_e32 v6, s5
	s_get_pc_i64 s[6:7]
	s_add_nc_u64 s[6:7], s[6:7], __assert_fail@rel64+4
	s_mov_b64 s[8:9], s[52:53]
	s_swap_pc_i64 s[30:31], s[6:7]
	s_or_b32 s1, s26, exec_lo
	s_xor_b32 s0, exec_lo, -1
.LBB6_415:
	s_or_b32 exec_lo, exec_lo, s25
	s_delay_alu instid0(SALU_CYCLE_1) | instskip(SKIP_1) | instid1(SALU_CYCLE_1)
	s_and_not1_b32 s2, s26, exec_lo
	s_and_b32 s1, s1, exec_lo
	s_or_b32 s26, s2, s1
	s_and_b32 s1, s0, exec_lo
.LBB6_416:
	s_or_b32 exec_lo, exec_lo, s24
	s_delay_alu instid0(SALU_CYCLE_1)
	s_and_not1_b32 s0, s18, exec_lo
	s_and_b32 s2, s26, exec_lo
	s_and_b32 s24, s1, exec_lo
	s_or_b32 s25, s0, s2
.LBB6_417:
	s_and_not1_saveexec_b32 s23, s23
	s_cbranch_execz .LBB6_419
; %bb.418:
	s_get_pc_i64 s[0:1]
	s_add_nc_u64 s[0:1], s[0:1], .str.39@rel64+4
	s_get_pc_i64 s[2:3]
	s_add_nc_u64 s[2:3], s[2:3], .str.31@rel64+4
	s_get_pc_i64 s[4:5]
	s_add_nc_u64 s[4:5], s[4:5], __PRETTY_FUNCTION__._ZN3sop17sopDivideInternalEPNS_3SopES1_S1_S1_P7VecsMemIjLi8192EE@rel64+4
	v_dual_mov_b32 v0, s0 :: v_dual_mov_b32 v1, s1
	v_dual_mov_b32 v2, s2 :: v_dual_mov_b32 v3, s3
	;; [unrolled: 1-line block ×3, first 2 shown]
	v_mov_b32_e32 v6, s5
	s_get_pc_i64 s[6:7]
	s_add_nc_u64 s[6:7], s[6:7], __assert_fail@rel64+4
	s_mov_b64 s[8:9], s[52:53]
	scratch_store_b32 off, v84, s33 offset:148
	s_swap_pc_i64 s[30:31], s[6:7]
	s_or_b32 s25, s25, exec_lo
.LBB6_419:
	s_wait_xcnt 0x0
	s_or_b32 exec_lo, exec_lo, s23
	s_delay_alu instid0(SALU_CYCLE_1) | instskip(SKIP_1) | instid1(SALU_CYCLE_1)
	s_and_not1_b32 s0, s18, exec_lo
	s_and_b32 s1, s25, exec_lo
	s_or_b32 s18, s0, s1
	s_and_b32 s0, s24, exec_lo
.LBB6_420:
	s_or_b32 exec_lo, exec_lo, s19
	s_delay_alu instid0(SALU_CYCLE_1)
	s_and_not1_b32 s1, s64, exec_lo
	s_and_b32 s2, s18, exec_lo
	s_and_b32 s0, s0, exec_lo
	s_or_b32 s18, s1, s2
                                        ; implicit-def: $vgpr80_vgpr81
	s_or_saveexec_b32 s1, s17
	s_mov_b32 s25, 0
	s_xor_b32 exec_lo, exec_lo, s1
	s_cbranch_execz .LBB6_72
.LBB6_421:
	flat_load_b32 v0, v[60:61]
	s_mov_b32 s3, 0
	s_mov_b32 s4, -1
	s_mov_b32 s5, s0
	s_mov_b32 s2, exec_lo
                                        ; implicit-def: $vgpr70
                                        ; implicit-def: $vgpr68_vgpr69
                                        ; implicit-def: $vgpr66_vgpr67
	v_mov_b32_e32 v59, 0
	scratch_store_b32 off, v59, s33 offset:148
	s_wait_loadcnt_dscnt 0x0
	v_add_nc_u32_e32 v0, v0, v58
	s_wait_xcnt 0x0
	s_delay_alu instid0(VALU_DEP_1)
	v_cmpx_gt_i32_e32 0x2001, v0
	s_cbranch_execz .LBB6_431
; %bb.422:
	flat_load_b32 v12, v[80:81]
	v_ashrrev_i32_e32 v1, 31, v0
	v_lshlrev_b64_e32 v[2:3], 2, v[58:59]
	s_mov_b32 s5, -1
	s_mov_b32 s6, s0
	s_mov_b32 s3, exec_lo
	v_lshl_add_u64 v[4:5], v[0:1], 2, v[60:61]
                                        ; implicit-def: $vgpr70
                                        ; implicit-def: $vgpr66_vgpr67
	s_delay_alu instid0(VALU_DEP_1) | instskip(NEXT) | instid1(VALU_DEP_1)
	v_sub_nc_u64_e32 v[2:3], v[4:5], v[2:3]
	v_add_nc_u64_e32 v[68:69], 4, v[2:3]
	v_add_nc_u32_e32 v2, v0, v58
	flat_store_b32 v[60:61], v0
	s_clause 0x1
	scratch_store_b64 off, v[68:69], s33 offset:152
	scratch_store_b32 off, v59, s33 offset:164
	s_wait_xcnt 0x0
	v_cmpx_gt_i32_e32 0x2001, v2
	s_cbranch_execz .LBB6_430
; %bb.423:
	flat_load_b64 v[66:67], v[64:65] offset:8
	v_sub_nc_u64_e32 v[6:7], 0, v[58:59]
	v_dual_ashrrev_i32 v59, 31, v58 :: v_dual_mov_b32 v13, 0
	v_dual_ashrrev_i32 v3, 31, v2 :: v_dual_mov_b32 v15, 0
	s_wait_loadcnt_dscnt 0x102
	v_not_b32_e32 v14, v12
	s_delay_alu instid0(VALU_DEP_3)
	v_lshl_add_u64 v[4:5], v[58:59], 2, v[4:5]
	v_lshlrev_b64_e32 v[6:7], 2, v[6:7]
	v_dual_mov_b32 v16, 0 :: v_dual_mov_b32 v8, 0
	s_mov_b32 s4, 0
	s_mov_b32 s5, 0
	flat_store_b32 v[60:61], v2
	v_add_nc_u64_e32 v[4:5], v[4:5], v[6:7]
	s_delay_alu instid0(VALU_DEP_1)
	v_add_nc_u64_e32 v[10:11], 4, v[4:5]
	v_add_nc_u64_e32 v[4:5], v[60:61], v[6:7]
	scratch_store_b64 off, v[10:11], s33 offset:168
	s_wait_loadcnt_dscnt 0x1
	v_mov_b64_e32 v[6:7], v[66:67]
	s_branch .LBB6_425
.LBB6_424:                              ;   in Loop: Header=BB6_425 Depth=1
	s_or_b32 exec_lo, exec_lo, s6
	s_delay_alu instid0(VALU_DEP_2) | instskip(SKIP_3) | instid1(VALU_DEP_2)
	v_lshl_add_u64 v[10:11], v[10:11], 2, v[4:5]
	v_ashrrev_i32_e32 v9, 31, v8
	s_add_co_i32 s5, s5, 1
	v_add_nc_u64_e32 v[6:7], 4, v[6:7]
	v_lshl_add_u64 v[8:9], v[8:9], 2, v[10:11]
	flat_store_b32 v[8:9], v17 offset:4
	flat_load_b32 v58, v[64:65] offset:4
	s_wait_xcnt 0x1
	v_mov_b32_e32 v8, v18
	s_wait_loadcnt_dscnt 0x0
	v_cmp_ge_i32_e32 vcc_lo, s5, v58
	s_or_b32 s4, vcc_lo, s4
	s_wait_xcnt 0x0
	s_and_not1_b32 exec_lo, exec_lo, s4
	s_cbranch_execz .LBB6_429
.LBB6_425:                              ; =>This Inner Loop Header: Depth=1
	flat_load_b32 v17, v[6:7]
	s_mov_b32 s6, exec_lo
	s_wait_loadcnt_dscnt 0x0
	v_and_b32_e32 v9, v17, v12
	s_wait_xcnt 0x0
	s_delay_alu instid0(VALU_DEP_1)
	v_cmpx_ne_u32_e64 v9, v12
	s_xor_b32 s6, exec_lo, s6
; %bb.426:                              ;   in Loop: Header=BB6_425 Depth=1
	v_add_nc_u32_e32 v15, 1, v8
; %bb.427:                              ;   in Loop: Header=BB6_425 Depth=1
	s_or_saveexec_b32 s6, s6
	v_mov_b64_e32 v[10:11], v[2:3]
	s_delay_alu instid0(VALU_DEP_2)
	v_dual_mov_b32 v70, v16 :: v_dual_mov_b32 v18, v15
	s_xor_b32 exec_lo, exec_lo, s6
	s_cbranch_execz .LBB6_424
; %bb.428:                              ;   in Loop: Header=BB6_425 Depth=1
	v_dual_add_nc_u32 v13, 1, v16 :: v_dual_bitop2_b32 v17, v17, v14 bitop3:0x40
	v_mov_b64_e32 v[10:11], v[0:1]
	v_dual_mov_b32 v18, v8 :: v_dual_mov_b32 v8, v16
	s_delay_alu instid0(VALU_DEP_3)
	v_dual_mov_b32 v16, v13 :: v_dual_mov_b32 v70, v13
	s_branch .LBB6_424
.LBB6_429:
	s_or_b32 exec_lo, exec_lo, s4
	s_delay_alu instid0(SALU_CYCLE_1)
	s_xor_b32 s5, exec_lo, -1
	s_or_b32 s6, s0, exec_lo
	s_clause 0x1
	scratch_store_b32 off, v15, s33 offset:164
	scratch_store_b32 off, v13, s33 offset:148
.LBB6_430:
	s_wait_xcnt 0x0
	s_or_b32 exec_lo, exec_lo, s3
	s_delay_alu instid0(SALU_CYCLE_1)
	s_and_not1_b32 s7, s0, exec_lo
	s_and_b32 s6, s6, exec_lo
	s_xor_b32 s4, exec_lo, -1
	s_and_b32 s3, s5, exec_lo
	s_or_b32 s5, s7, s6
.LBB6_431:
	s_or_b32 exec_lo, exec_lo, s2
	s_delay_alu instid0(SALU_CYCLE_1)
	s_and_not1_b32 s0, s0, exec_lo
	s_and_b32 s2, s5, exec_lo
	s_and_b32 s25, s4, exec_lo
	;; [unrolled: 1-line block ×3, first 2 shown]
	s_or_b32 s0, s0, s2
	s_or_b32 exec_lo, exec_lo, s1
                                        ; implicit-def: $vgpr44
	s_and_saveexec_b32 s26, s0
	s_cbranch_execz .LBB6_2538
.LBB6_432:
	s_mov_b32 s19, s18
	s_mov_b32 s0, exec_lo
	v_cmpx_gt_i32_e32 1, v70
	s_xor_b32 s17, exec_lo, s0
	s_cbranch_execz .LBB6_434
; %bb.433:
	s_get_pc_i64 s[0:1]
	s_add_nc_u64 s[0:1], s[0:1], .str.34@rel64+4
	s_get_pc_i64 s[2:3]
	s_add_nc_u64 s[2:3], s[2:3], .str.31@rel64+4
	s_get_pc_i64 s[4:5]
	s_add_nc_u64 s[4:5], s[4:5], __PRETTY_FUNCTION__._ZN3sop12sopFactorRecEPNS_3SopEiP7VecsMemIjLi8192EEPN8subgUtil4SubgILi256EEE@rel64+4
	v_dual_mov_b32 v0, s0 :: v_dual_mov_b32 v1, s1
	v_dual_mov_b32 v2, s2 :: v_dual_mov_b32 v3, s3
	v_dual_mov_b32 v4, 0x1b7 :: v_dual_mov_b32 v5, s4
	v_mov_b32_e32 v6, s5
	s_get_pc_i64 s[6:7]
	s_add_nc_u64 s[6:7], s[6:7], __assert_fail@rel64+4
	s_mov_b64 s[8:9], s[52:53]
	s_swap_pc_i64 s[30:31], s[6:7]
	s_or_b32 s19, s18, exec_lo
                                        ; implicit-def: $vgpr70
                                        ; implicit-def: $vgpr60_vgpr61
                                        ; implicit-def: $vgpr64_vgpr65
                                        ; implicit-def: $vgpr58
                                        ; implicit-def: $vgpr41
                                        ; implicit-def: $vgpr42_vgpr43
                                        ; implicit-def: $vgpr68_vgpr69
                                        ; implicit-def: $vgpr66_vgpr67
.LBB6_434:
	s_or_saveexec_b32 s27, s17
                                        ; implicit-def: $vgpr44
	s_delay_alu instid0(SALU_CYCLE_1)
	s_xor_b32 exec_lo, exec_lo, s27
	s_cbranch_execz .LBB6_2537
; %bb.435:
	s_mov_b32 s29, 0
	s_mov_b32 s24, 0
	s_mov_b32 s23, s19
                                        ; implicit-def: $vgpr44
	s_mov_b32 s0, exec_lo
	v_cmpx_ne_u32_e32 1, v70
	s_xor_b32 s40, exec_lo, s0
                                        ; implicit-def: $vgpr73 : SGPR spill to VGPR lane
	s_cbranch_execz .LBB6_1864
; %bb.436:
	v_and_b32_e32 v4, 0x7ffffffe, v70
	v_mov_b64_e32 v[0:1], v[68:69]
	v_dual_mov_b32 v2, -1 :: v_dual_mov_b32 v3, -1
	s_mov_b32 s0, 0
	s_delay_alu instid0(VALU_DEP_3)
	v_mov_b32_e32 v5, v4
.LBB6_437:                              ; =>This Inner Loop Header: Depth=1
	flat_load_b64 v[6:7], v[0:1]
	v_add_nc_u32_e32 v5, -2, v5
	s_wait_xcnt 0x0
	v_add_nc_u64_e32 v[0:1], 8, v[0:1]
	s_wait_loadcnt_dscnt 0x0
	v_and_b32_e32 v3, v7, v3
	v_cmp_eq_u32_e32 vcc_lo, 0, v5
	v_and_b32_e32 v2, v6, v2
	s_or_b32 s0, vcc_lo, s0
	s_delay_alu instid0(SALU_CYCLE_1)
	s_and_not1_b32 exec_lo, exec_lo, s0
	s_cbranch_execnz .LBB6_437
; %bb.438:
	s_or_b32 exec_lo, exec_lo, s0
	v_and_b32_e32 v2, v2, v3
	v_cmp_ne_u32_e32 vcc_lo, v70, v4
	s_and_saveexec_b32 s1, vcc_lo
	s_cbranch_execz .LBB6_442
; %bb.439:
	v_bfe_u32 v0, v70, 1, 30
	v_dual_mov_b32 v1, 0 :: v_dual_sub_nc_u32 v3, v70, v4
	s_mov_b32 s2, 0
	s_delay_alu instid0(VALU_DEP_1)
	v_lshl_add_u64 v[0:1], v[0:1], 3, v[68:69]
.LBB6_440:                              ; =>This Inner Loop Header: Depth=1
	flat_load_b32 v5, v[0:1]
	v_add_nc_u32_e32 v3, -1, v3
	s_wait_xcnt 0x0
	v_add_nc_u64_e32 v[0:1], 4, v[0:1]
	s_wait_loadcnt_dscnt 0x0
	v_and_b32_e32 v2, v5, v2
	v_cmp_eq_u32_e64 s0, 0, v3
	s_or_b32 s2, s0, s2
	s_delay_alu instid0(SALU_CYCLE_1)
	s_and_not1_b32 exec_lo, exec_lo, s2
	s_cbranch_execnz .LBB6_440
; %bb.441:
	s_or_b32 exec_lo, exec_lo, s2
.LBB6_442:
	s_delay_alu instid0(SALU_CYCLE_1)
	s_or_b32 exec_lo, exec_lo, s1
	s_mov_b32 s2, 0
	s_mov_b32 s1, exec_lo
	v_cmpx_ne_u32_e32 0, v2
	s_cbranch_execz .LBB6_449
; %bb.443:
	v_not_b32_e32 v0, v2
	v_mov_b64_e32 v[2:3], v[68:69]
	s_delay_alu instid0(VALU_DEP_2)
	v_dual_mov_b32 v5, v4 :: v_dual_mov_b32 v1, v0
.LBB6_444:                              ; =>This Inner Loop Header: Depth=1
	flat_load_b64 v[6:7], v[2:3]
	s_wait_loadcnt_dscnt 0x0
	v_dual_add_nc_u32 v5, -2, v5 :: v_dual_bitop2_b32 v6, v6, v0 bitop3:0x40
	v_and_b32_e32 v7, v7, v1
	s_delay_alu instid0(VALU_DEP_2) | instskip(SKIP_4) | instid1(SALU_CYCLE_1)
	v_cmp_eq_u32_e64 s0, 0, v5
	flat_store_b64 v[2:3], v[6:7]
	s_wait_xcnt 0x0
	v_add_nc_u64_e32 v[2:3], 8, v[2:3]
	s_or_b32 s2, s0, s2
	s_and_not1_b32 exec_lo, exec_lo, s2
	s_cbranch_execnz .LBB6_444
; %bb.445:
	s_or_b32 exec_lo, exec_lo, s2
	s_and_saveexec_b32 s0, vcc_lo
	s_cbranch_execz .LBB6_448
; %bb.446:
	v_bfe_u32 v2, v70, 1, 30
	v_dual_mov_b32 v3, 0 :: v_dual_sub_nc_u32 v1, v70, v4
	s_mov_b32 s2, 0
	s_delay_alu instid0(VALU_DEP_1)
	v_lshl_add_u64 v[2:3], v[2:3], 3, v[68:69]
.LBB6_447:                              ; =>This Inner Loop Header: Depth=1
	flat_load_b32 v4, v[2:3]
	s_wait_loadcnt_dscnt 0x0
	v_dual_add_nc_u32 v1, -1, v1 :: v_dual_bitop2_b32 v4, v4, v0 bitop3:0x40
	s_delay_alu instid0(VALU_DEP_1) | instskip(SKIP_4) | instid1(SALU_CYCLE_1)
	v_cmp_eq_u32_e32 vcc_lo, 0, v1
	flat_store_b32 v[2:3], v4
	s_wait_xcnt 0x0
	v_add_nc_u64_e32 v[2:3], 4, v[2:3]
	s_or_b32 s2, vcc_lo, s2
	s_and_not1_b32 exec_lo, exec_lo, s2
	s_cbranch_execnz .LBB6_447
.LBB6_448:
	s_or_b32 exec_lo, exec_lo, s0
	flat_load_b32 v58, v[64:65] offset:4
.LBB6_449:
	s_wait_xcnt 0x0
	s_or_b32 exec_lo, exec_lo, s1
	s_mov_b32 s17, 0
	s_mov_b32 s23, s19
                                        ; implicit-def: $vgpr44
	s_mov_b32 s0, exec_lo
	s_wait_loadcnt_dscnt 0x0
	v_cmpx_ge_i32_e64 v58, v70
	s_xor_b32 s41, exec_lo, s0
	s_cbranch_execz .LBB6_1861
; %bb.450:
	v_mov_b64_e32 v[80:81], 0
	v_mov_b32_e32 v59, 0
	s_mov_b32 s0, -1
	s_mov_b32 s17, s19
	s_mov_b32 s23, exec_lo
	scratch_store_b32 off, v59, s33 offset:132
	s_wait_xcnt 0x0
	v_cmpx_le_u32_e64 v70, v58
	s_cbranch_execz .LBB6_597
; %bb.451:
	flat_load_b32 v3, v[60:61]
	v_cvt_f32_u32_e32 v0, v70
	v_mov_b64_e32 v[80:81], 0
	s_mov_b32 s24, 0
	s_mov_b32 s0, exec_lo
	v_sub_nc_u32_e32 v1, 0, v70
	v_rcp_iflag_f32_e32 v0, v0
	v_nop
	s_delay_alu instid0(TRANS32_DEP_1) | instskip(NEXT) | instid1(VALU_DEP_1)
	v_mul_f32_e32 v0, 0x4f7ffffe, v0
	v_cvt_u32_f32_e32 v0, v0
	s_delay_alu instid0(VALU_DEP_1) | instskip(NEXT) | instid1(VALU_DEP_1)
	v_mul_lo_u32 v1, v1, v0
	v_mul_hi_u32 v1, v0, v1
	s_delay_alu instid0(VALU_DEP_1) | instskip(NEXT) | instid1(VALU_DEP_1)
	v_dual_mov_b32 v1, v59 :: v_dual_add_nc_u32 v0, v0, v1
	v_mul_u64_e32 v[0:1], v[58:59], v[0:1]
	s_delay_alu instid0(VALU_DEP_1) | instskip(NEXT) | instid1(VALU_DEP_1)
	v_mul_lo_u32 v0, v1, v70
	v_dual_add_nc_u32 v2, 1, v1 :: v_dual_sub_nc_u32 v0, v58, v0
	s_delay_alu instid0(VALU_DEP_1) | instskip(NEXT) | instid1(VALU_DEP_2)
	v_cmp_ge_u32_e32 vcc_lo, v0, v70
	v_cndmask_b32_e32 v1, v1, v2, vcc_lo
	s_delay_alu instid0(VALU_DEP_1) | instskip(NEXT) | instid1(VALU_DEP_1)
	v_dual_sub_nc_u32 v4, v0, v70 :: v_dual_add_nc_u32 v2, 1, v1
	v_cndmask_b32_e32 v0, v0, v4, vcc_lo
	s_delay_alu instid0(VALU_DEP_1) | instskip(NEXT) | instid1(VALU_DEP_3)
	v_cmp_ge_u32_e32 vcc_lo, v0, v70
	v_cndmask_b32_e32 v2, v1, v2, vcc_lo
	s_wait_loadcnt_dscnt 0x0
	s_delay_alu instid0(VALU_DEP_1) | instskip(SKIP_1) | instid1(VALU_DEP_1)
	v_add_nc_u32_e32 v0, v3, v2
	s_wait_xcnt 0x0
	v_cmpx_gt_i32_e32 0x2001, v0
	s_xor_b32 s0, exec_lo, s0
	s_cbranch_execz .LBB6_453
; %bb.452:
	v_dual_mov_b32 v3, 0 :: v_dual_ashrrev_i32 v1, 31, v0
	s_mov_b32 s24, exec_lo
	flat_store_b32 v[60:61], v0
	v_lshlrev_b64_e32 v[2:3], 2, v[2:3]
	v_lshl_add_u64 v[4:5], v[0:1], 2, v[60:61]
	s_delay_alu instid0(VALU_DEP_1) | instskip(NEXT) | instid1(VALU_DEP_1)
	v_sub_nc_u64_e32 v[2:3], v[4:5], v[2:3]
	v_add_nc_u64_e32 v[80:81], 4, v[2:3]
.LBB6_453:
	s_wait_xcnt 0x0
	s_or_saveexec_b32 s17, s0
	s_mov_b32 s0, s19
	s_xor_b32 exec_lo, exec_lo, s17
	s_cbranch_execz .LBB6_596
; %bb.454:
	s_load_b64 s[2:3], s[52:53], 0x50
	v_mbcnt_lo_u32_b32 v32, -1, 0
	v_mov_b64_e32 v[2:3], 0
	s_delay_alu instid0(VALU_DEP_2) | instskip(NEXT) | instid1(VALU_DEP_1)
	v_readfirstlane_b32 s0, v32
	v_cmp_eq_u32_e64 s0, s0, v32
	s_and_saveexec_b32 s1, s0
	s_cbranch_execz .LBB6_460
; %bb.455:
	v_mov_b32_e32 v0, 0
	s_mov_b32 s4, exec_lo
	s_wait_kmcnt 0x0
	global_load_b64 v[4:5], v0, s[2:3] offset:24 scope:SCOPE_SYS
	s_wait_loadcnt 0x0
	global_inv scope:SCOPE_SYS
	s_clause 0x1
	global_load_b64 v[2:3], v0, s[2:3] offset:40
	global_load_b64 v[6:7], v0, s[2:3]
	s_wait_loadcnt 0x1
	v_and_b32_e32 v2, v2, v4
	v_and_b32_e32 v3, v3, v5
	s_delay_alu instid0(VALU_DEP_1) | instskip(SKIP_1) | instid1(VALU_DEP_1)
	v_mul_u64_e32 v[2:3], 24, v[2:3]
	s_wait_loadcnt 0x0
	v_add_nc_u64_e32 v[2:3], v[6:7], v[2:3]
	global_load_b64 v[2:3], v[2:3], off scope:SCOPE_SYS
	s_wait_xcnt 0x0
	s_wait_loadcnt 0x0
	global_atomic_cmpswap_b64 v[2:3], v0, v[2:5], s[2:3] offset:24 th:TH_ATOMIC_RETURN scope:SCOPE_SYS
	s_wait_loadcnt 0x0
	global_inv scope:SCOPE_SYS
	s_wait_xcnt 0x0
	v_cmpx_ne_u64_e64 v[2:3], v[4:5]
	s_cbranch_execz .LBB6_459
; %bb.456:
	s_mov_b32 s5, 0
.LBB6_457:                              ; =>This Inner Loop Header: Depth=1
	s_sleep 1
	s_clause 0x1
	global_load_b64 v[6:7], v0, s[2:3] offset:40
	global_load_b64 v[8:9], v0, s[2:3]
	v_mov_b64_e32 v[4:5], v[2:3]
	s_wait_loadcnt 0x1
	s_delay_alu instid0(VALU_DEP_1) | instskip(SKIP_1) | instid1(VALU_DEP_1)
	v_and_b32_e32 v1, v6, v4
	s_wait_loadcnt 0x0
	v_mad_nc_u64_u32 v[2:3], v1, 24, v[8:9]
	s_delay_alu instid0(VALU_DEP_3) | instskip(NEXT) | instid1(VALU_DEP_1)
	v_and_b32_e32 v1, v7, v5
	v_mad_u32 v3, v1, 24, v3
	global_load_b64 v[2:3], v[2:3], off scope:SCOPE_SYS
	s_wait_xcnt 0x0
	s_wait_loadcnt 0x0
	global_atomic_cmpswap_b64 v[2:3], v0, v[2:5], s[2:3] offset:24 th:TH_ATOMIC_RETURN scope:SCOPE_SYS
	s_wait_loadcnt 0x0
	global_inv scope:SCOPE_SYS
	v_cmp_eq_u64_e32 vcc_lo, v[2:3], v[4:5]
	s_or_b32 s5, vcc_lo, s5
	s_wait_xcnt 0x0
	s_and_not1_b32 exec_lo, exec_lo, s5
	s_cbranch_execnz .LBB6_457
; %bb.458:
	s_or_b32 exec_lo, exec_lo, s5
.LBB6_459:
	s_delay_alu instid0(SALU_CYCLE_1)
	s_or_b32 exec_lo, exec_lo, s4
.LBB6_460:
	s_delay_alu instid0(SALU_CYCLE_1)
	s_or_b32 exec_lo, exec_lo, s1
	v_readfirstlane_b32 s4, v2
	v_mov_b32_e32 v1, 0
	v_readfirstlane_b32 s5, v3
	s_mov_b32 s1, exec_lo
	s_wait_kmcnt 0x0
	s_clause 0x1
	global_load_b64 v[8:9], v1, s[2:3] offset:40
	global_load_b128 v[4:7], v1, s[2:3]
	s_wait_loadcnt 0x1
	v_and_b32_e32 v10, s4, v8
	v_and_b32_e32 v11, s5, v9
	s_delay_alu instid0(VALU_DEP_1) | instskip(SKIP_1) | instid1(VALU_DEP_1)
	v_mul_u64_e32 v[2:3], 24, v[10:11]
	s_wait_loadcnt 0x0
	v_add_nc_u64_e32 v[8:9], v[4:5], v[2:3]
	s_wait_xcnt 0x0
	s_and_saveexec_b32 s6, s0
	s_cbranch_execz .LBB6_462
; %bb.461:
	v_mov_b64_e32 v[2:3], 0x100000002
	v_mov_b32_e32 v0, s1
	global_store_b128 v[8:9], v[0:3], off offset:8
.LBB6_462:
	s_wait_xcnt 0x0
	s_or_b32 exec_lo, exec_lo, s6
	v_lshlrev_b64_e32 v[2:3], 12, v[10:11]
	s_mov_b32 s8, 0
	v_dual_lshlrev_b32 v0, 6, v32 :: v_dual_mov_b32 v10, 33
	s_mov_b32 s10, s8
	s_mov_b32 s11, s8
	;; [unrolled: 1-line block ×3, first 2 shown]
	s_delay_alu instid0(VALU_DEP_2)
	v_add_nc_u64_e32 v[6:7], v[6:7], v[2:3]
	v_mov_b64_e32 v[16:17], s[10:11]
	v_mov_b64_e32 v[14:15], s[8:9]
	v_dual_mov_b32 v11, v1 :: v_dual_mov_b32 v12, v1
	v_mov_b32_e32 v13, v1
	v_readfirstlane_b32 s6, v6
	v_readfirstlane_b32 s7, v7
	s_clause 0x3
	global_store_b128 v0, v[10:13], s[6:7]
	global_store_b128 v0, v[14:17], s[6:7] offset:16
	global_store_b128 v0, v[14:17], s[6:7] offset:32
	;; [unrolled: 1-line block ×3, first 2 shown]
	s_wait_xcnt 0x0
	s_and_saveexec_b32 s1, s0
	s_cbranch_execz .LBB6_470
; %bb.463:
	v_dual_mov_b32 v12, 0 :: v_dual_mov_b32 v15, s5
	s_mov_b32 s6, exec_lo
	s_clause 0x1
	global_load_b64 v[16:17], v12, s[2:3] offset:32 scope:SCOPE_SYS
	global_load_b64 v[2:3], v12, s[2:3] offset:40
	s_wait_loadcnt 0x0
	v_dual_mov_b32 v14, s4 :: v_dual_bitop2_b32 v3, s5, v3 bitop3:0x40
	v_and_b32_e32 v2, s4, v2
	s_delay_alu instid0(VALU_DEP_1) | instskip(NEXT) | instid1(VALU_DEP_1)
	v_mul_u64_e32 v[2:3], 24, v[2:3]
	v_add_nc_u64_e32 v[10:11], v[4:5], v[2:3]
	global_store_b64 v[10:11], v[16:17], off
	global_wb scope:SCOPE_SYS
	s_wait_storecnt 0x0
	s_wait_xcnt 0x0
	global_atomic_cmpswap_b64 v[4:5], v12, v[14:17], s[2:3] offset:32 th:TH_ATOMIC_RETURN scope:SCOPE_SYS
	s_wait_loadcnt 0x0
	v_cmpx_ne_u64_e64 v[4:5], v[16:17]
	s_cbranch_execz .LBB6_466
; %bb.464:
	s_mov_b32 s7, 0
.LBB6_465:                              ; =>This Inner Loop Header: Depth=1
	v_dual_mov_b32 v2, s4 :: v_dual_mov_b32 v3, s5
	s_sleep 1
	global_store_b64 v[10:11], v[4:5], off
	global_wb scope:SCOPE_SYS
	s_wait_storecnt 0x0
	s_wait_xcnt 0x0
	global_atomic_cmpswap_b64 v[2:3], v12, v[2:5], s[2:3] offset:32 th:TH_ATOMIC_RETURN scope:SCOPE_SYS
	s_wait_loadcnt 0x0
	v_cmp_eq_u64_e32 vcc_lo, v[2:3], v[4:5]
	v_mov_b64_e32 v[4:5], v[2:3]
	s_or_b32 s7, vcc_lo, s7
	s_delay_alu instid0(SALU_CYCLE_1)
	s_and_not1_b32 exec_lo, exec_lo, s7
	s_cbranch_execnz .LBB6_465
.LBB6_466:
	s_or_b32 exec_lo, exec_lo, s6
	v_mov_b32_e32 v5, 0
	s_mov_b32 s7, exec_lo
	s_mov_b32 s6, exec_lo
	v_mbcnt_lo_u32_b32 v4, s7, 0
	global_load_b64 v[2:3], v5, s[2:3] offset:16
	s_wait_xcnt 0x0
	v_cmpx_eq_u32_e32 0, v4
	s_cbranch_execz .LBB6_468
; %bb.467:
	s_bcnt1_i32_b32 s7, s7
	s_delay_alu instid0(SALU_CYCLE_1)
	v_mov_b32_e32 v4, s7
	global_wb scope:SCOPE_SYS
	s_wait_loadcnt 0x0
	s_wait_storecnt 0x0
	global_atomic_add_u64 v[2:3], v[4:5], off offset:8 scope:SCOPE_SYS
.LBB6_468:
	s_wait_xcnt 0x0
	s_or_b32 exec_lo, exec_lo, s6
	s_wait_loadcnt 0x0
	global_load_b64 v[4:5], v[2:3], off offset:16
	s_wait_loadcnt 0x0
	v_cmp_eq_u64_e32 vcc_lo, 0, v[4:5]
	s_cbranch_vccnz .LBB6_470
; %bb.469:
	global_load_b32 v2, v[2:3], off offset:24
	s_wait_xcnt 0x0
	v_mov_b32_e32 v3, 0
	s_wait_loadcnt 0x0
	v_readfirstlane_b32 s6, v2
	global_wb scope:SCOPE_SYS
	s_wait_storecnt 0x0
	global_store_b64 v[4:5], v[2:3], off scope:SCOPE_SYS
	s_and_b32 m0, s6, 0xffffff
	s_sendmsg sendmsg(MSG_INTERRUPT)
.LBB6_470:
	s_wait_xcnt 0x0
	s_or_b32 exec_lo, exec_lo, s1
	v_add_nc_u64_e32 v[2:3], v[6:7], v[0:1]
	s_branch .LBB6_474
.LBB6_471:                              ;   in Loop: Header=BB6_474 Depth=1
	s_wait_xcnt 0x0
	s_or_b32 exec_lo, exec_lo, s1
	s_delay_alu instid0(VALU_DEP_1)
	v_readfirstlane_b32 s1, v1
	s_cmp_eq_u32 s1, 0
	s_cbranch_scc1 .LBB6_473
; %bb.472:                              ;   in Loop: Header=BB6_474 Depth=1
	s_sleep 1
	s_cbranch_execnz .LBB6_474
	s_branch .LBB6_476
.LBB6_473:
	s_branch .LBB6_476
.LBB6_474:                              ; =>This Inner Loop Header: Depth=1
	v_mov_b32_e32 v1, 1
	s_and_saveexec_b32 s1, s0
	s_cbranch_execz .LBB6_471
; %bb.475:                              ;   in Loop: Header=BB6_474 Depth=1
	global_load_b32 v1, v[8:9], off offset:20 scope:SCOPE_SYS
	s_wait_loadcnt 0x0
	global_inv scope:SCOPE_SYS
	v_and_b32_e32 v1, 1, v1
	s_branch .LBB6_471
.LBB6_476:
	global_load_b64 v[2:3], v[2:3], off
	s_wait_xcnt 0x0
	s_and_saveexec_b32 s6, s0
	s_cbranch_execz .LBB6_480
; %bb.477:
	v_mov_b32_e32 v1, 0
	s_clause 0x2
	global_load_b64 v[4:5], v1, s[2:3] offset:40
	global_load_b64 v[12:13], v1, s[2:3] offset:24 scope:SCOPE_SYS
	global_load_b64 v[6:7], v1, s[2:3]
	s_wait_loadcnt 0x2
	v_readfirstlane_b32 s8, v4
	v_readfirstlane_b32 s9, v5
	s_add_nc_u64 s[0:1], s[8:9], 1
	s_delay_alu instid0(SALU_CYCLE_1) | instskip(NEXT) | instid1(SALU_CYCLE_1)
	s_add_nc_u64 s[4:5], s[0:1], s[4:5]
	s_cmp_eq_u64 s[4:5], 0
	s_cselect_b32 s1, s1, s5
	s_cselect_b32 s0, s0, s4
	v_mov_b32_e32 v11, s1
	s_and_b64 s[4:5], s[0:1], s[8:9]
	v_mov_b32_e32 v10, s0
	s_mul_u64 s[4:5], s[4:5], 24
	s_wait_loadcnt 0x0
	v_add_nc_u64_e32 v[8:9], s[4:5], v[6:7]
	global_store_b64 v[8:9], v[12:13], off
	global_wb scope:SCOPE_SYS
	s_wait_storecnt 0x0
	s_wait_xcnt 0x0
	global_atomic_cmpswap_b64 v[6:7], v1, v[10:13], s[2:3] offset:24 th:TH_ATOMIC_RETURN scope:SCOPE_SYS
	s_wait_loadcnt 0x0
	v_cmp_ne_u64_e32 vcc_lo, v[6:7], v[12:13]
	s_and_b32 exec_lo, exec_lo, vcc_lo
	s_cbranch_execz .LBB6_480
; %bb.478:
	s_mov_b32 s4, 0
.LBB6_479:                              ; =>This Inner Loop Header: Depth=1
	v_dual_mov_b32 v4, s0 :: v_dual_mov_b32 v5, s1
	s_sleep 1
	global_store_b64 v[8:9], v[6:7], off
	global_wb scope:SCOPE_SYS
	s_wait_storecnt 0x0
	s_wait_xcnt 0x0
	global_atomic_cmpswap_b64 v[4:5], v1, v[4:7], s[2:3] offset:24 th:TH_ATOMIC_RETURN scope:SCOPE_SYS
	s_wait_loadcnt 0x0
	v_cmp_eq_u64_e32 vcc_lo, v[4:5], v[6:7]
	v_mov_b64_e32 v[6:7], v[4:5]
	s_or_b32 s4, vcc_lo, s4
	s_delay_alu instid0(SALU_CYCLE_1)
	s_and_not1_b32 exec_lo, exec_lo, s4
	s_cbranch_execnz .LBB6_479
.LBB6_480:
	s_or_b32 exec_lo, exec_lo, s6
	s_get_pc_i64 s[4:5]
	s_add_nc_u64 s[4:5], s[4:5], .str.28@rel64+4
	s_delay_alu instid0(SALU_CYCLE_1)
	s_cmp_lg_u64 s[4:5], 0
	s_cbranch_scc0 .LBB6_566
; %bb.481:
	v_mov_b64_e32 v[6:7], 0x100000002
	s_wait_loadcnt 0x0
	v_dual_mov_b32 v9, v3 :: v_dual_bitop2_b32 v8, -3, v2 bitop3:0x40
	v_mov_b32_e32 v5, 0
	s_mov_b64 s[6:7], 35
	s_branch .LBB6_483
.LBB6_482:                              ;   in Loop: Header=BB6_483 Depth=1
	s_or_b32 exec_lo, exec_lo, s12
	s_sub_nc_u64 s[6:7], s[6:7], s[8:9]
	s_add_nc_u64 s[4:5], s[4:5], s[8:9]
	s_cmp_lg_u64 s[6:7], 0
	s_cbranch_scc0 .LBB6_565
.LBB6_483:                              ; =>This Loop Header: Depth=1
                                        ;     Child Loop BB6_486 Depth 2
                                        ;     Child Loop BB6_494 Depth 2
	;; [unrolled: 1-line block ×11, first 2 shown]
	s_wait_loadcnt 0x0
	v_min_u64 v[10:11], s[6:7], 56
	v_cmp_gt_u64_e64 s0, s[6:7], 7
	s_and_b32 vcc_lo, exec_lo, s0
	v_readfirstlane_b32 s8, v10
	v_readfirstlane_b32 s9, v11
	s_cbranch_vccnz .LBB6_488
; %bb.484:                              ;   in Loop: Header=BB6_483 Depth=1
	v_mov_b64_e32 v[10:11], 0
	s_cmp_eq_u64 s[6:7], 0
	s_cbranch_scc1 .LBB6_487
; %bb.485:                              ;   in Loop: Header=BB6_483 Depth=1
	s_mov_b64 s[0:1], 0
	s_mov_b64 s[10:11], 0
.LBB6_486:                              ;   Parent Loop BB6_483 Depth=1
                                        ; =>  This Inner Loop Header: Depth=2
	s_wait_xcnt 0x0
	s_add_nc_u64 s[12:13], s[4:5], s[10:11]
	s_add_nc_u64 s[10:11], s[10:11], 1
	global_load_u8 v1, v5, s[12:13]
	s_cmp_lg_u32 s8, s10
	s_wait_loadcnt 0x0
	v_and_b32_e32 v4, 0xffff, v1
	s_delay_alu instid0(VALU_DEP_1) | instskip(SKIP_1) | instid1(VALU_DEP_1)
	v_lshlrev_b64_e32 v[12:13], s0, v[4:5]
	s_add_nc_u64 s[0:1], s[0:1], 8
	v_or_b32_e32 v10, v12, v10
	s_delay_alu instid0(VALU_DEP_2)
	v_or_b32_e32 v11, v13, v11
	s_cbranch_scc1 .LBB6_486
.LBB6_487:                              ;   in Loop: Header=BB6_483 Depth=1
	s_mov_b32 s0, 0
	s_mov_b64 s[10:11], s[4:5]
	s_branch .LBB6_489
.LBB6_488:                              ;   in Loop: Header=BB6_483 Depth=1
	s_add_nc_u64 s[10:11], s[4:5], 8
	s_mov_b32 s0, -1
.LBB6_489:                              ;   in Loop: Header=BB6_483 Depth=1
	s_delay_alu instid0(SALU_CYCLE_1)
	s_and_not1_b32 vcc_lo, exec_lo, s0
	s_mov_b32 s14, 0
	s_cbranch_vccnz .LBB6_491
; %bb.490:                              ;   in Loop: Header=BB6_483 Depth=1
	global_load_b64 v[10:11], v5, s[4:5]
	s_add_co_i32 s14, s8, -8
.LBB6_491:                              ;   in Loop: Header=BB6_483 Depth=1
	s_delay_alu instid0(SALU_CYCLE_1)
	s_cmp_gt_u32 s14, 7
	s_cbranch_scc1 .LBB6_496
; %bb.492:                              ;   in Loop: Header=BB6_483 Depth=1
	v_mov_b64_e32 v[12:13], 0
	s_cmp_eq_u32 s14, 0
	s_cbranch_scc1 .LBB6_495
; %bb.493:                              ;   in Loop: Header=BB6_483 Depth=1
	s_mov_b64 s[0:1], 0
	s_wait_xcnt 0x0
	s_mov_b64 s[12:13], 0
.LBB6_494:                              ;   Parent Loop BB6_483 Depth=1
                                        ; =>  This Inner Loop Header: Depth=2
	s_wait_xcnt 0x0
	s_add_nc_u64 s[42:43], s[10:11], s[12:13]
	s_add_nc_u64 s[12:13], s[12:13], 1
	global_load_u8 v1, v5, s[42:43]
	s_cmp_lg_u32 s14, s12
	s_wait_loadcnt 0x0
	v_and_b32_e32 v4, 0xffff, v1
	s_delay_alu instid0(VALU_DEP_1) | instskip(SKIP_1) | instid1(VALU_DEP_1)
	v_lshlrev_b64_e32 v[14:15], s0, v[4:5]
	s_add_nc_u64 s[0:1], s[0:1], 8
	v_or_b32_e32 v12, v14, v12
	s_delay_alu instid0(VALU_DEP_2)
	v_or_b32_e32 v13, v15, v13
	s_cbranch_scc1 .LBB6_494
.LBB6_495:                              ;   in Loop: Header=BB6_483 Depth=1
	s_wait_xcnt 0x0
	s_mov_b32 s12, 0
	s_mov_b64 s[0:1], s[10:11]
	s_branch .LBB6_497
.LBB6_496:                              ;   in Loop: Header=BB6_483 Depth=1
	s_add_nc_u64 s[0:1], s[10:11], 8
	s_wait_xcnt 0x0
	s_mov_b32 s12, -1
                                        ; implicit-def: $vgpr12_vgpr13
.LBB6_497:                              ;   in Loop: Header=BB6_483 Depth=1
	s_delay_alu instid0(SALU_CYCLE_1)
	s_and_not1_b32 vcc_lo, exec_lo, s12
	s_mov_b32 s15, 0
	s_cbranch_vccnz .LBB6_499
; %bb.498:                              ;   in Loop: Header=BB6_483 Depth=1
	global_load_b64 v[12:13], v5, s[10:11]
	s_add_co_i32 s15, s14, -8
.LBB6_499:                              ;   in Loop: Header=BB6_483 Depth=1
	s_delay_alu instid0(SALU_CYCLE_1)
	s_cmp_gt_u32 s15, 7
	s_cbranch_scc1 .LBB6_504
; %bb.500:                              ;   in Loop: Header=BB6_483 Depth=1
	v_mov_b64_e32 v[14:15], 0
	s_cmp_eq_u32 s15, 0
	s_cbranch_scc1 .LBB6_503
; %bb.501:                              ;   in Loop: Header=BB6_483 Depth=1
	s_wait_xcnt 0x0
	s_mov_b64 s[10:11], 0
	s_mov_b64 s[12:13], 0
.LBB6_502:                              ;   Parent Loop BB6_483 Depth=1
                                        ; =>  This Inner Loop Header: Depth=2
	s_wait_xcnt 0x0
	s_add_nc_u64 s[42:43], s[0:1], s[12:13]
	s_add_nc_u64 s[12:13], s[12:13], 1
	global_load_u8 v1, v5, s[42:43]
	s_cmp_lg_u32 s15, s12
	s_wait_loadcnt 0x0
	v_and_b32_e32 v4, 0xffff, v1
	s_delay_alu instid0(VALU_DEP_1) | instskip(SKIP_1) | instid1(VALU_DEP_1)
	v_lshlrev_b64_e32 v[16:17], s10, v[4:5]
	s_add_nc_u64 s[10:11], s[10:11], 8
	v_or_b32_e32 v14, v16, v14
	s_delay_alu instid0(VALU_DEP_2)
	v_or_b32_e32 v15, v17, v15
	s_cbranch_scc1 .LBB6_502
.LBB6_503:                              ;   in Loop: Header=BB6_483 Depth=1
	s_mov_b32 s12, 0
	s_wait_xcnt 0x0
	s_mov_b64 s[10:11], s[0:1]
	s_branch .LBB6_505
.LBB6_504:                              ;   in Loop: Header=BB6_483 Depth=1
	s_wait_xcnt 0x0
	s_add_nc_u64 s[10:11], s[0:1], 8
	s_mov_b32 s12, -1
.LBB6_505:                              ;   in Loop: Header=BB6_483 Depth=1
	s_delay_alu instid0(SALU_CYCLE_1)
	s_and_not1_b32 vcc_lo, exec_lo, s12
	s_mov_b32 s14, 0
	s_cbranch_vccnz .LBB6_507
; %bb.506:                              ;   in Loop: Header=BB6_483 Depth=1
	global_load_b64 v[14:15], v5, s[0:1]
	s_add_co_i32 s14, s15, -8
.LBB6_507:                              ;   in Loop: Header=BB6_483 Depth=1
	s_delay_alu instid0(SALU_CYCLE_1)
	s_cmp_gt_u32 s14, 7
	s_cbranch_scc1 .LBB6_512
; %bb.508:                              ;   in Loop: Header=BB6_483 Depth=1
	v_mov_b64_e32 v[16:17], 0
	s_cmp_eq_u32 s14, 0
	s_cbranch_scc1 .LBB6_511
; %bb.509:                              ;   in Loop: Header=BB6_483 Depth=1
	s_wait_xcnt 0x0
	s_mov_b64 s[0:1], 0
	s_mov_b64 s[12:13], 0
.LBB6_510:                              ;   Parent Loop BB6_483 Depth=1
                                        ; =>  This Inner Loop Header: Depth=2
	s_wait_xcnt 0x0
	s_add_nc_u64 s[42:43], s[10:11], s[12:13]
	s_add_nc_u64 s[12:13], s[12:13], 1
	global_load_u8 v1, v5, s[42:43]
	s_cmp_lg_u32 s14, s12
	s_wait_loadcnt 0x0
	v_and_b32_e32 v4, 0xffff, v1
	s_delay_alu instid0(VALU_DEP_1) | instskip(SKIP_1) | instid1(VALU_DEP_1)
	v_lshlrev_b64_e32 v[18:19], s0, v[4:5]
	s_add_nc_u64 s[0:1], s[0:1], 8
	v_or_b32_e32 v16, v18, v16
	s_delay_alu instid0(VALU_DEP_2)
	v_or_b32_e32 v17, v19, v17
	s_cbranch_scc1 .LBB6_510
.LBB6_511:                              ;   in Loop: Header=BB6_483 Depth=1
	s_mov_b32 s12, 0
	s_wait_xcnt 0x0
	s_mov_b64 s[0:1], s[10:11]
	s_branch .LBB6_513
.LBB6_512:                              ;   in Loop: Header=BB6_483 Depth=1
	s_wait_xcnt 0x0
	s_add_nc_u64 s[0:1], s[10:11], 8
	s_mov_b32 s12, -1
                                        ; implicit-def: $vgpr16_vgpr17
.LBB6_513:                              ;   in Loop: Header=BB6_483 Depth=1
	s_delay_alu instid0(SALU_CYCLE_1)
	s_and_not1_b32 vcc_lo, exec_lo, s12
	s_mov_b32 s15, 0
	s_cbranch_vccnz .LBB6_515
; %bb.514:                              ;   in Loop: Header=BB6_483 Depth=1
	global_load_b64 v[16:17], v5, s[10:11]
	s_add_co_i32 s15, s14, -8
.LBB6_515:                              ;   in Loop: Header=BB6_483 Depth=1
	s_delay_alu instid0(SALU_CYCLE_1)
	s_cmp_gt_u32 s15, 7
	s_cbranch_scc1 .LBB6_520
; %bb.516:                              ;   in Loop: Header=BB6_483 Depth=1
	v_mov_b64_e32 v[18:19], 0
	s_cmp_eq_u32 s15, 0
	s_cbranch_scc1 .LBB6_519
; %bb.517:                              ;   in Loop: Header=BB6_483 Depth=1
	s_wait_xcnt 0x0
	s_mov_b64 s[10:11], 0
	s_mov_b64 s[12:13], 0
.LBB6_518:                              ;   Parent Loop BB6_483 Depth=1
                                        ; =>  This Inner Loop Header: Depth=2
	s_wait_xcnt 0x0
	s_add_nc_u64 s[42:43], s[0:1], s[12:13]
	s_add_nc_u64 s[12:13], s[12:13], 1
	global_load_u8 v1, v5, s[42:43]
	s_cmp_lg_u32 s15, s12
	s_wait_loadcnt 0x0
	v_and_b32_e32 v4, 0xffff, v1
	s_delay_alu instid0(VALU_DEP_1) | instskip(SKIP_1) | instid1(VALU_DEP_1)
	v_lshlrev_b64_e32 v[20:21], s10, v[4:5]
	s_add_nc_u64 s[10:11], s[10:11], 8
	v_or_b32_e32 v18, v20, v18
	s_delay_alu instid0(VALU_DEP_2)
	v_or_b32_e32 v19, v21, v19
	s_cbranch_scc1 .LBB6_518
.LBB6_519:                              ;   in Loop: Header=BB6_483 Depth=1
	s_mov_b32 s12, 0
	s_wait_xcnt 0x0
	s_mov_b64 s[10:11], s[0:1]
	s_branch .LBB6_521
.LBB6_520:                              ;   in Loop: Header=BB6_483 Depth=1
	s_wait_xcnt 0x0
	s_add_nc_u64 s[10:11], s[0:1], 8
	s_mov_b32 s12, -1
.LBB6_521:                              ;   in Loop: Header=BB6_483 Depth=1
	s_delay_alu instid0(SALU_CYCLE_1)
	s_and_not1_b32 vcc_lo, exec_lo, s12
	s_mov_b32 s14, 0
	s_cbranch_vccnz .LBB6_523
; %bb.522:                              ;   in Loop: Header=BB6_483 Depth=1
	global_load_b64 v[18:19], v5, s[0:1]
	s_add_co_i32 s14, s15, -8
.LBB6_523:                              ;   in Loop: Header=BB6_483 Depth=1
	s_delay_alu instid0(SALU_CYCLE_1)
	s_cmp_gt_u32 s14, 7
	s_cbranch_scc1 .LBB6_528
; %bb.524:                              ;   in Loop: Header=BB6_483 Depth=1
	v_mov_b64_e32 v[20:21], 0
	s_cmp_eq_u32 s14, 0
	s_cbranch_scc1 .LBB6_527
; %bb.525:                              ;   in Loop: Header=BB6_483 Depth=1
	s_wait_xcnt 0x0
	s_mov_b64 s[0:1], 0
	s_mov_b64 s[12:13], 0
.LBB6_526:                              ;   Parent Loop BB6_483 Depth=1
                                        ; =>  This Inner Loop Header: Depth=2
	s_wait_xcnt 0x0
	s_add_nc_u64 s[42:43], s[10:11], s[12:13]
	s_add_nc_u64 s[12:13], s[12:13], 1
	global_load_u8 v1, v5, s[42:43]
	s_cmp_lg_u32 s14, s12
	s_wait_loadcnt 0x0
	v_and_b32_e32 v4, 0xffff, v1
	s_delay_alu instid0(VALU_DEP_1) | instskip(SKIP_1) | instid1(VALU_DEP_1)
	v_lshlrev_b64_e32 v[22:23], s0, v[4:5]
	s_add_nc_u64 s[0:1], s[0:1], 8
	v_or_b32_e32 v20, v22, v20
	s_delay_alu instid0(VALU_DEP_2)
	v_or_b32_e32 v21, v23, v21
	s_cbranch_scc1 .LBB6_526
.LBB6_527:                              ;   in Loop: Header=BB6_483 Depth=1
	s_mov_b32 s12, 0
	s_wait_xcnt 0x0
	s_mov_b64 s[0:1], s[10:11]
	s_branch .LBB6_529
.LBB6_528:                              ;   in Loop: Header=BB6_483 Depth=1
	s_wait_xcnt 0x0
	s_add_nc_u64 s[0:1], s[10:11], 8
	s_mov_b32 s12, -1
                                        ; implicit-def: $vgpr20_vgpr21
.LBB6_529:                              ;   in Loop: Header=BB6_483 Depth=1
	s_delay_alu instid0(SALU_CYCLE_1)
	s_and_not1_b32 vcc_lo, exec_lo, s12
	s_mov_b32 s15, 0
	s_cbranch_vccnz .LBB6_531
; %bb.530:                              ;   in Loop: Header=BB6_483 Depth=1
	global_load_b64 v[20:21], v5, s[10:11]
	s_add_co_i32 s15, s14, -8
.LBB6_531:                              ;   in Loop: Header=BB6_483 Depth=1
	s_delay_alu instid0(SALU_CYCLE_1)
	s_cmp_gt_u32 s15, 7
	s_cbranch_scc1 .LBB6_536
; %bb.532:                              ;   in Loop: Header=BB6_483 Depth=1
	v_mov_b64_e32 v[22:23], 0
	s_cmp_eq_u32 s15, 0
	s_cbranch_scc1 .LBB6_535
; %bb.533:                              ;   in Loop: Header=BB6_483 Depth=1
	s_wait_xcnt 0x0
	s_mov_b64 s[10:11], 0
	s_mov_b64 s[12:13], s[0:1]
.LBB6_534:                              ;   Parent Loop BB6_483 Depth=1
                                        ; =>  This Inner Loop Header: Depth=2
	global_load_u8 v1, v5, s[12:13]
	s_add_co_i32 s15, s15, -1
	s_wait_xcnt 0x0
	s_add_nc_u64 s[12:13], s[12:13], 1
	s_cmp_lg_u32 s15, 0
	s_wait_loadcnt 0x0
	v_and_b32_e32 v4, 0xffff, v1
	s_delay_alu instid0(VALU_DEP_1) | instskip(SKIP_1) | instid1(VALU_DEP_1)
	v_lshlrev_b64_e32 v[24:25], s10, v[4:5]
	s_add_nc_u64 s[10:11], s[10:11], 8
	v_or_b32_e32 v22, v24, v22
	s_delay_alu instid0(VALU_DEP_2)
	v_or_b32_e32 v23, v25, v23
	s_cbranch_scc1 .LBB6_534
.LBB6_535:                              ;   in Loop: Header=BB6_483 Depth=1
	s_wait_xcnt 0x0
	s_mov_b32 s10, 0
	s_branch .LBB6_537
.LBB6_536:                              ;   in Loop: Header=BB6_483 Depth=1
	s_wait_xcnt 0x0
	s_mov_b32 s10, -1
.LBB6_537:                              ;   in Loop: Header=BB6_483 Depth=1
	s_delay_alu instid0(SALU_CYCLE_1)
	s_and_not1_b32 vcc_lo, exec_lo, s10
	s_cbranch_vccnz .LBB6_539
; %bb.538:                              ;   in Loop: Header=BB6_483 Depth=1
	global_load_b64 v[22:23], v5, s[0:1]
.LBB6_539:                              ;   in Loop: Header=BB6_483 Depth=1
	s_wait_xcnt 0x0
	v_readfirstlane_b32 s0, v32
	v_mov_b64_e32 v[28:29], 0
	s_delay_alu instid0(VALU_DEP_2)
	v_cmp_eq_u32_e64 s0, s0, v32
	s_and_saveexec_b32 s1, s0
	s_cbranch_execz .LBB6_545
; %bb.540:                              ;   in Loop: Header=BB6_483 Depth=1
	global_load_b64 v[26:27], v5, s[2:3] offset:24 scope:SCOPE_SYS
	s_wait_loadcnt 0x0
	global_inv scope:SCOPE_SYS
	s_clause 0x1
	global_load_b64 v[24:25], v5, s[2:3] offset:40
	global_load_b64 v[28:29], v5, s[2:3]
	s_mov_b32 s10, exec_lo
	s_wait_loadcnt 0x1
	v_and_b32_e32 v24, v24, v26
	v_and_b32_e32 v25, v25, v27
	s_delay_alu instid0(VALU_DEP_1) | instskip(SKIP_1) | instid1(VALU_DEP_1)
	v_mul_u64_e32 v[24:25], 24, v[24:25]
	s_wait_loadcnt 0x0
	v_add_nc_u64_e32 v[24:25], v[28:29], v[24:25]
	global_load_b64 v[24:25], v[24:25], off scope:SCOPE_SYS
	s_wait_xcnt 0x0
	s_wait_loadcnt 0x0
	global_atomic_cmpswap_b64 v[28:29], v5, v[24:27], s[2:3] offset:24 th:TH_ATOMIC_RETURN scope:SCOPE_SYS
	s_wait_loadcnt 0x0
	global_inv scope:SCOPE_SYS
	s_wait_xcnt 0x0
	v_cmpx_ne_u64_e64 v[28:29], v[26:27]
	s_cbranch_execz .LBB6_544
; %bb.541:                              ;   in Loop: Header=BB6_483 Depth=1
	s_mov_b32 s11, 0
.LBB6_542:                              ;   Parent Loop BB6_483 Depth=1
                                        ; =>  This Inner Loop Header: Depth=2
	s_sleep 1
	s_clause 0x1
	global_load_b64 v[24:25], v5, s[2:3] offset:40
	global_load_b64 v[30:31], v5, s[2:3]
	v_mov_b64_e32 v[26:27], v[28:29]
	s_wait_loadcnt 0x1
	s_delay_alu instid0(VALU_DEP_1) | instskip(SKIP_1) | instid1(VALU_DEP_1)
	v_and_b32_e32 v1, v24, v26
	s_wait_loadcnt 0x0
	v_mad_nc_u64_u32 v[28:29], v1, 24, v[30:31]
	s_delay_alu instid0(VALU_DEP_3) | instskip(NEXT) | instid1(VALU_DEP_1)
	v_and_b32_e32 v1, v25, v27
	v_mad_u32 v29, v1, 24, v29
	global_load_b64 v[24:25], v[28:29], off scope:SCOPE_SYS
	s_wait_xcnt 0x0
	s_wait_loadcnt 0x0
	global_atomic_cmpswap_b64 v[28:29], v5, v[24:27], s[2:3] offset:24 th:TH_ATOMIC_RETURN scope:SCOPE_SYS
	s_wait_loadcnt 0x0
	global_inv scope:SCOPE_SYS
	v_cmp_eq_u64_e32 vcc_lo, v[28:29], v[26:27]
	s_or_b32 s11, vcc_lo, s11
	s_wait_xcnt 0x0
	s_and_not1_b32 exec_lo, exec_lo, s11
	s_cbranch_execnz .LBB6_542
; %bb.543:                              ;   in Loop: Header=BB6_483 Depth=1
	s_or_b32 exec_lo, exec_lo, s11
.LBB6_544:                              ;   in Loop: Header=BB6_483 Depth=1
	s_delay_alu instid0(SALU_CYCLE_1)
	s_or_b32 exec_lo, exec_lo, s10
.LBB6_545:                              ;   in Loop: Header=BB6_483 Depth=1
	s_delay_alu instid0(SALU_CYCLE_1)
	s_or_b32 exec_lo, exec_lo, s1
	s_clause 0x1
	global_load_b64 v[30:31], v5, s[2:3] offset:40
	global_load_b128 v[24:27], v5, s[2:3]
	v_readfirstlane_b32 s10, v28
	v_readfirstlane_b32 s11, v29
	s_mov_b32 s1, exec_lo
	s_wait_loadcnt 0x1
	v_and_b32_e32 v30, s10, v30
	v_and_b32_e32 v31, s11, v31
	s_delay_alu instid0(VALU_DEP_1) | instskip(SKIP_1) | instid1(VALU_DEP_1)
	v_mul_u64_e32 v[28:29], 24, v[30:31]
	s_wait_loadcnt 0x0
	v_add_nc_u64_e32 v[28:29], v[24:25], v[28:29]
	s_wait_xcnt 0x0
	s_and_saveexec_b32 s12, s0
	s_cbranch_execz .LBB6_547
; %bb.546:                              ;   in Loop: Header=BB6_483 Depth=1
	v_mov_b32_e32 v4, s1
	global_store_b128 v[28:29], v[4:7], off offset:8
.LBB6_547:                              ;   in Loop: Header=BB6_483 Depth=1
	s_wait_xcnt 0x0
	s_or_b32 exec_lo, exec_lo, s12
	v_cmp_gt_u64_e64 s1, s[6:7], 56
	v_lshlrev_b64_e32 v[30:31], 12, v[30:31]
	v_and_b32_e32 v1, 0xffffff1f, v8
	s_and_b32 s1, s1, exec_lo
	s_delay_alu instid0(VALU_DEP_2) | instskip(SKIP_4) | instid1(VALU_DEP_2)
	v_add_nc_u64_e32 v[26:27], v[26:27], v[30:31]
	s_cselect_b32 s1, 0, 2
	s_lshl_b32 s12, s8, 2
	v_or_b32_e32 v1, s1, v1
	s_add_co_i32 s1, s12, 28
	v_readfirstlane_b32 s12, v26
	s_delay_alu instid0(VALU_DEP_3) | instskip(NEXT) | instid1(VALU_DEP_3)
	v_readfirstlane_b32 s13, v27
	v_and_or_b32 v8, 0x1e0, s1, v1
	s_clause 0x3
	global_store_b128 v0, v[8:11], s[12:13]
	global_store_b128 v0, v[12:15], s[12:13] offset:16
	global_store_b128 v0, v[16:19], s[12:13] offset:32
	;; [unrolled: 1-line block ×3, first 2 shown]
	s_wait_xcnt 0x0
	s_and_saveexec_b32 s1, s0
	s_cbranch_execz .LBB6_555
; %bb.548:                              ;   in Loop: Header=BB6_483 Depth=1
	s_clause 0x1
	global_load_b64 v[16:17], v5, s[2:3] offset:32 scope:SCOPE_SYS
	global_load_b64 v[8:9], v5, s[2:3] offset:40
	s_mov_b32 s12, exec_lo
	v_dual_mov_b32 v14, s10 :: v_dual_mov_b32 v15, s11
	s_wait_loadcnt 0x0
	v_and_b32_e32 v9, s11, v9
	v_and_b32_e32 v8, s10, v8
	s_delay_alu instid0(VALU_DEP_1) | instskip(NEXT) | instid1(VALU_DEP_1)
	v_mul_u64_e32 v[8:9], 24, v[8:9]
	v_add_nc_u64_e32 v[12:13], v[24:25], v[8:9]
	global_store_b64 v[12:13], v[16:17], off
	global_wb scope:SCOPE_SYS
	s_wait_storecnt 0x0
	s_wait_xcnt 0x0
	global_atomic_cmpswap_b64 v[10:11], v5, v[14:17], s[2:3] offset:32 th:TH_ATOMIC_RETURN scope:SCOPE_SYS
	s_wait_loadcnt 0x0
	v_cmpx_ne_u64_e64 v[10:11], v[16:17]
	s_cbranch_execz .LBB6_551
; %bb.549:                              ;   in Loop: Header=BB6_483 Depth=1
	s_mov_b32 s13, 0
.LBB6_550:                              ;   Parent Loop BB6_483 Depth=1
                                        ; =>  This Inner Loop Header: Depth=2
	v_dual_mov_b32 v8, s10 :: v_dual_mov_b32 v9, s11
	s_sleep 1
	global_store_b64 v[12:13], v[10:11], off
	global_wb scope:SCOPE_SYS
	s_wait_storecnt 0x0
	s_wait_xcnt 0x0
	global_atomic_cmpswap_b64 v[8:9], v5, v[8:11], s[2:3] offset:32 th:TH_ATOMIC_RETURN scope:SCOPE_SYS
	s_wait_loadcnt 0x0
	v_cmp_eq_u64_e32 vcc_lo, v[8:9], v[10:11]
	v_mov_b64_e32 v[10:11], v[8:9]
	s_or_b32 s13, vcc_lo, s13
	s_delay_alu instid0(SALU_CYCLE_1)
	s_and_not1_b32 exec_lo, exec_lo, s13
	s_cbranch_execnz .LBB6_550
.LBB6_551:                              ;   in Loop: Header=BB6_483 Depth=1
	s_or_b32 exec_lo, exec_lo, s12
	global_load_b64 v[8:9], v5, s[2:3] offset:16
	s_mov_b32 s13, exec_lo
	s_mov_b32 s12, exec_lo
	v_mbcnt_lo_u32_b32 v1, s13, 0
	s_wait_xcnt 0x0
	s_delay_alu instid0(VALU_DEP_1)
	v_cmpx_eq_u32_e32 0, v1
	s_cbranch_execz .LBB6_553
; %bb.552:                              ;   in Loop: Header=BB6_483 Depth=1
	s_bcnt1_i32_b32 s13, s13
	s_delay_alu instid0(SALU_CYCLE_1)
	v_mov_b32_e32 v4, s13
	global_wb scope:SCOPE_SYS
	s_wait_loadcnt 0x0
	s_wait_storecnt 0x0
	global_atomic_add_u64 v[8:9], v[4:5], off offset:8 scope:SCOPE_SYS
.LBB6_553:                              ;   in Loop: Header=BB6_483 Depth=1
	s_wait_xcnt 0x0
	s_or_b32 exec_lo, exec_lo, s12
	s_wait_loadcnt 0x0
	global_load_b64 v[10:11], v[8:9], off offset:16
	s_wait_loadcnt 0x0
	v_cmp_eq_u64_e32 vcc_lo, 0, v[10:11]
	s_cbranch_vccnz .LBB6_555
; %bb.554:                              ;   in Loop: Header=BB6_483 Depth=1
	global_load_b32 v4, v[8:9], off offset:24
	s_wait_loadcnt 0x0
	v_readfirstlane_b32 s12, v4
	global_wb scope:SCOPE_SYS
	s_wait_storecnt 0x0
	s_wait_xcnt 0x0
	global_store_b64 v[10:11], v[4:5], off scope:SCOPE_SYS
	s_and_b32 m0, s12, 0xffffff
	s_sendmsg sendmsg(MSG_INTERRUPT)
.LBB6_555:                              ;   in Loop: Header=BB6_483 Depth=1
	s_wait_xcnt 0x0
	s_or_b32 exec_lo, exec_lo, s1
	v_mov_b32_e32 v1, v5
	s_delay_alu instid0(VALU_DEP_1)
	v_add_nc_u64_e32 v[8:9], v[26:27], v[0:1]
	s_branch .LBB6_559
.LBB6_556:                              ;   in Loop: Header=BB6_559 Depth=2
	s_wait_xcnt 0x0
	s_or_b32 exec_lo, exec_lo, s1
	s_delay_alu instid0(VALU_DEP_1)
	v_readfirstlane_b32 s1, v1
	s_cmp_eq_u32 s1, 0
	s_cbranch_scc1 .LBB6_558
; %bb.557:                              ;   in Loop: Header=BB6_559 Depth=2
	s_sleep 1
	s_cbranch_execnz .LBB6_559
	s_branch .LBB6_561
.LBB6_558:                              ;   in Loop: Header=BB6_483 Depth=1
	s_branch .LBB6_561
.LBB6_559:                              ;   Parent Loop BB6_483 Depth=1
                                        ; =>  This Inner Loop Header: Depth=2
	v_mov_b32_e32 v1, 1
	s_and_saveexec_b32 s1, s0
	s_cbranch_execz .LBB6_556
; %bb.560:                              ;   in Loop: Header=BB6_559 Depth=2
	global_load_b32 v1, v[28:29], off offset:20 scope:SCOPE_SYS
	s_wait_loadcnt 0x0
	global_inv scope:SCOPE_SYS
	v_and_b32_e32 v1, 1, v1
	s_branch .LBB6_556
.LBB6_561:                              ;   in Loop: Header=BB6_483 Depth=1
	global_load_b128 v[8:11], v[8:9], off
	s_wait_xcnt 0x0
	s_and_saveexec_b32 s12, s0
	s_cbranch_execz .LBB6_482
; %bb.562:                              ;   in Loop: Header=BB6_483 Depth=1
	s_wait_loadcnt 0x0
	s_clause 0x2
	global_load_b64 v[10:11], v5, s[2:3] offset:40
	global_load_b64 v[18:19], v5, s[2:3] offset:24 scope:SCOPE_SYS
	global_load_b64 v[12:13], v5, s[2:3]
	s_wait_loadcnt 0x2
	v_readfirstlane_b32 s14, v10
	v_readfirstlane_b32 s15, v11
	s_add_nc_u64 s[0:1], s[14:15], 1
	s_delay_alu instid0(SALU_CYCLE_1) | instskip(NEXT) | instid1(SALU_CYCLE_1)
	s_add_nc_u64 s[10:11], s[0:1], s[10:11]
	s_cmp_eq_u64 s[10:11], 0
	s_cselect_b32 s1, s1, s11
	s_cselect_b32 s0, s0, s10
	s_delay_alu instid0(SALU_CYCLE_1) | instskip(SKIP_1) | instid1(SALU_CYCLE_1)
	v_dual_mov_b32 v17, s1 :: v_dual_mov_b32 v16, s0
	s_and_b64 s[10:11], s[0:1], s[14:15]
	s_mul_u64 s[10:11], s[10:11], 24
	s_wait_loadcnt 0x0
	v_add_nc_u64_e32 v[14:15], s[10:11], v[12:13]
	global_store_b64 v[14:15], v[18:19], off
	global_wb scope:SCOPE_SYS
	s_wait_storecnt 0x0
	s_wait_xcnt 0x0
	global_atomic_cmpswap_b64 v[12:13], v5, v[16:19], s[2:3] offset:24 th:TH_ATOMIC_RETURN scope:SCOPE_SYS
	s_wait_loadcnt 0x0
	v_cmp_ne_u64_e32 vcc_lo, v[12:13], v[18:19]
	s_and_b32 exec_lo, exec_lo, vcc_lo
	s_cbranch_execz .LBB6_482
; %bb.563:                              ;   in Loop: Header=BB6_483 Depth=1
	s_mov_b32 s10, 0
.LBB6_564:                              ;   Parent Loop BB6_483 Depth=1
                                        ; =>  This Inner Loop Header: Depth=2
	v_dual_mov_b32 v10, s0 :: v_dual_mov_b32 v11, s1
	s_sleep 1
	global_store_b64 v[14:15], v[12:13], off
	global_wb scope:SCOPE_SYS
	s_wait_storecnt 0x0
	s_wait_xcnt 0x0
	global_atomic_cmpswap_b64 v[10:11], v5, v[10:13], s[2:3] offset:24 th:TH_ATOMIC_RETURN scope:SCOPE_SYS
	s_wait_loadcnt 0x0
	v_cmp_eq_u64_e32 vcc_lo, v[10:11], v[12:13]
	v_mov_b64_e32 v[12:13], v[10:11]
	s_or_b32 s10, vcc_lo, s10
	s_delay_alu instid0(SALU_CYCLE_1)
	s_and_not1_b32 exec_lo, exec_lo, s10
	s_cbranch_execnz .LBB6_564
	s_branch .LBB6_482
.LBB6_565:
	s_mov_b32 s0, 0
	s_branch .LBB6_567
.LBB6_566:
	s_mov_b32 s0, -1
.LBB6_567:
	s_delay_alu instid0(SALU_CYCLE_1)
	s_and_b32 vcc_lo, exec_lo, s0
	s_cbranch_vccz .LBB6_595
; %bb.568:
	v_readfirstlane_b32 s0, v32
	s_wait_loadcnt 0x0
	v_mov_b64_e32 v[10:11], 0
	s_delay_alu instid0(VALU_DEP_2)
	v_cmp_eq_u32_e64 s0, s0, v32
	s_and_saveexec_b32 s1, s0
	s_cbranch_execz .LBB6_574
; %bb.569:
	v_mov_b32_e32 v1, 0
	s_mov_b32 s4, exec_lo
	global_load_b64 v[6:7], v1, s[2:3] offset:24 scope:SCOPE_SYS
	s_wait_loadcnt 0x0
	global_inv scope:SCOPE_SYS
	s_clause 0x1
	global_load_b64 v[4:5], v1, s[2:3] offset:40
	global_load_b64 v[8:9], v1, s[2:3]
	s_wait_loadcnt 0x1
	v_and_b32_e32 v4, v4, v6
	v_and_b32_e32 v5, v5, v7
	s_delay_alu instid0(VALU_DEP_1) | instskip(SKIP_1) | instid1(VALU_DEP_1)
	v_mul_u64_e32 v[4:5], 24, v[4:5]
	s_wait_loadcnt 0x0
	v_add_nc_u64_e32 v[4:5], v[8:9], v[4:5]
	global_load_b64 v[4:5], v[4:5], off scope:SCOPE_SYS
	s_wait_xcnt 0x0
	s_wait_loadcnt 0x0
	global_atomic_cmpswap_b64 v[10:11], v1, v[4:7], s[2:3] offset:24 th:TH_ATOMIC_RETURN scope:SCOPE_SYS
	s_wait_loadcnt 0x0
	global_inv scope:SCOPE_SYS
	s_wait_xcnt 0x0
	v_cmpx_ne_u64_e64 v[10:11], v[6:7]
	s_cbranch_execz .LBB6_573
; %bb.570:
	s_mov_b32 s5, 0
.LBB6_571:                              ; =>This Inner Loop Header: Depth=1
	s_sleep 1
	s_clause 0x1
	global_load_b64 v[4:5], v1, s[2:3] offset:40
	global_load_b64 v[8:9], v1, s[2:3]
	v_mov_b64_e32 v[6:7], v[10:11]
	s_wait_loadcnt 0x1
	s_delay_alu instid0(VALU_DEP_1) | instskip(SKIP_1) | instid1(VALU_DEP_1)
	v_and_b32_e32 v4, v4, v6
	s_wait_loadcnt 0x0
	v_mad_nc_u64_u32 v[8:9], v4, 24, v[8:9]
	s_delay_alu instid0(VALU_DEP_3) | instskip(NEXT) | instid1(VALU_DEP_1)
	v_and_b32_e32 v4, v5, v7
	v_mad_u32 v9, v4, 24, v9
	global_load_b64 v[4:5], v[8:9], off scope:SCOPE_SYS
	s_wait_xcnt 0x0
	s_wait_loadcnt 0x0
	global_atomic_cmpswap_b64 v[10:11], v1, v[4:7], s[2:3] offset:24 th:TH_ATOMIC_RETURN scope:SCOPE_SYS
	s_wait_loadcnt 0x0
	global_inv scope:SCOPE_SYS
	v_cmp_eq_u64_e32 vcc_lo, v[10:11], v[6:7]
	s_or_b32 s5, vcc_lo, s5
	s_wait_xcnt 0x0
	s_and_not1_b32 exec_lo, exec_lo, s5
	s_cbranch_execnz .LBB6_571
; %bb.572:
	s_or_b32 exec_lo, exec_lo, s5
.LBB6_573:
	s_delay_alu instid0(SALU_CYCLE_1)
	s_or_b32 exec_lo, exec_lo, s4
.LBB6_574:
	s_delay_alu instid0(SALU_CYCLE_1)
	s_or_b32 exec_lo, exec_lo, s1
	v_readfirstlane_b32 s4, v10
	v_mov_b32_e32 v4, 0
	v_readfirstlane_b32 s5, v11
	s_mov_b32 s1, exec_lo
	s_clause 0x1
	global_load_b64 v[12:13], v4, s[2:3] offset:40
	global_load_b128 v[6:9], v4, s[2:3]
	s_wait_loadcnt 0x1
	v_and_b32_e32 v12, s4, v12
	v_and_b32_e32 v13, s5, v13
	s_delay_alu instid0(VALU_DEP_1) | instskip(SKIP_1) | instid1(VALU_DEP_1)
	v_mul_u64_e32 v[10:11], 24, v[12:13]
	s_wait_loadcnt 0x0
	v_add_nc_u64_e32 v[10:11], v[6:7], v[10:11]
	s_wait_xcnt 0x0
	s_and_saveexec_b32 s6, s0
	s_cbranch_execz .LBB6_576
; %bb.575:
	v_mov_b64_e32 v[16:17], 0x100000002
	v_dual_mov_b32 v14, s1 :: v_dual_mov_b32 v15, v4
	global_store_b128 v[10:11], v[14:17], off offset:8
.LBB6_576:
	s_wait_xcnt 0x0
	s_or_b32 exec_lo, exec_lo, s6
	v_lshlrev_b64_e32 v[12:13], 12, v[12:13]
	s_mov_b32 s8, 0
	v_and_or_b32 v2, 0xffffff1d, v2, 34
	s_mov_b32 s10, s8
	s_mov_b32 s11, s8
	;; [unrolled: 1-line block ×3, first 2 shown]
	v_mov_b32_e32 v5, v4
	v_add_nc_u64_e32 v[8:9], v[8:9], v[12:13]
	v_mov_b64_e32 v[14:15], s[10:11]
	v_mov_b64_e32 v[12:13], s[8:9]
	s_delay_alu instid0(VALU_DEP_3) | instskip(NEXT) | instid1(VALU_DEP_4)
	v_readfirstlane_b32 s6, v8
	v_readfirstlane_b32 s7, v9
	s_clause 0x3
	global_store_b128 v0, v[2:5], s[6:7]
	global_store_b128 v0, v[12:15], s[6:7] offset:16
	global_store_b128 v0, v[12:15], s[6:7] offset:32
	;; [unrolled: 1-line block ×3, first 2 shown]
	s_wait_xcnt 0x0
	s_and_saveexec_b32 s1, s0
	s_cbranch_execz .LBB6_584
; %bb.577:
	v_dual_mov_b32 v8, 0 :: v_dual_mov_b32 v13, s5
	s_mov_b32 s6, exec_lo
	s_clause 0x1
	global_load_b64 v[14:15], v8, s[2:3] offset:32 scope:SCOPE_SYS
	global_load_b64 v[0:1], v8, s[2:3] offset:40
	s_wait_loadcnt 0x0
	v_dual_mov_b32 v12, s4 :: v_dual_bitop2_b32 v1, s5, v1 bitop3:0x40
	v_and_b32_e32 v0, s4, v0
	s_delay_alu instid0(VALU_DEP_1) | instskip(NEXT) | instid1(VALU_DEP_1)
	v_mul_u64_e32 v[0:1], 24, v[0:1]
	v_add_nc_u64_e32 v[4:5], v[6:7], v[0:1]
	global_store_b64 v[4:5], v[14:15], off
	global_wb scope:SCOPE_SYS
	s_wait_storecnt 0x0
	s_wait_xcnt 0x0
	global_atomic_cmpswap_b64 v[2:3], v8, v[12:15], s[2:3] offset:32 th:TH_ATOMIC_RETURN scope:SCOPE_SYS
	s_wait_loadcnt 0x0
	v_cmpx_ne_u64_e64 v[2:3], v[14:15]
	s_cbranch_execz .LBB6_580
; %bb.578:
	s_mov_b32 s7, 0
.LBB6_579:                              ; =>This Inner Loop Header: Depth=1
	v_dual_mov_b32 v0, s4 :: v_dual_mov_b32 v1, s5
	s_sleep 1
	global_store_b64 v[4:5], v[2:3], off
	global_wb scope:SCOPE_SYS
	s_wait_storecnt 0x0
	s_wait_xcnt 0x0
	global_atomic_cmpswap_b64 v[0:1], v8, v[0:3], s[2:3] offset:32 th:TH_ATOMIC_RETURN scope:SCOPE_SYS
	s_wait_loadcnt 0x0
	v_cmp_eq_u64_e32 vcc_lo, v[0:1], v[2:3]
	v_mov_b64_e32 v[2:3], v[0:1]
	s_or_b32 s7, vcc_lo, s7
	s_delay_alu instid0(SALU_CYCLE_1)
	s_and_not1_b32 exec_lo, exec_lo, s7
	s_cbranch_execnz .LBB6_579
.LBB6_580:
	s_or_b32 exec_lo, exec_lo, s6
	v_mov_b32_e32 v3, 0
	s_mov_b32 s7, exec_lo
	s_mov_b32 s6, exec_lo
	v_mbcnt_lo_u32_b32 v2, s7, 0
	global_load_b64 v[0:1], v3, s[2:3] offset:16
	s_wait_xcnt 0x0
	v_cmpx_eq_u32_e32 0, v2
	s_cbranch_execz .LBB6_582
; %bb.581:
	s_bcnt1_i32_b32 s7, s7
	s_delay_alu instid0(SALU_CYCLE_1)
	v_mov_b32_e32 v2, s7
	global_wb scope:SCOPE_SYS
	s_wait_loadcnt 0x0
	s_wait_storecnt 0x0
	global_atomic_add_u64 v[0:1], v[2:3], off offset:8 scope:SCOPE_SYS
.LBB6_582:
	s_wait_xcnt 0x0
	s_or_b32 exec_lo, exec_lo, s6
	s_wait_loadcnt 0x0
	global_load_b64 v[2:3], v[0:1], off offset:16
	s_wait_loadcnt 0x0
	v_cmp_eq_u64_e32 vcc_lo, 0, v[2:3]
	s_cbranch_vccnz .LBB6_584
; %bb.583:
	global_load_b32 v0, v[0:1], off offset:24
	s_wait_xcnt 0x0
	v_mov_b32_e32 v1, 0
	s_wait_loadcnt 0x0
	v_readfirstlane_b32 s6, v0
	global_wb scope:SCOPE_SYS
	s_wait_storecnt 0x0
	global_store_b64 v[2:3], v[0:1], off scope:SCOPE_SYS
	s_and_b32 m0, s6, 0xffffff
	s_sendmsg sendmsg(MSG_INTERRUPT)
.LBB6_584:
	s_wait_xcnt 0x0
	s_or_b32 exec_lo, exec_lo, s1
	s_branch .LBB6_588
.LBB6_585:                              ;   in Loop: Header=BB6_588 Depth=1
	s_wait_xcnt 0x0
	s_or_b32 exec_lo, exec_lo, s1
	s_delay_alu instid0(VALU_DEP_1)
	v_readfirstlane_b32 s1, v0
	s_cmp_eq_u32 s1, 0
	s_cbranch_scc1 .LBB6_587
; %bb.586:                              ;   in Loop: Header=BB6_588 Depth=1
	s_sleep 1
	s_cbranch_execnz .LBB6_588
	s_branch .LBB6_590
.LBB6_587:
	s_branch .LBB6_590
.LBB6_588:                              ; =>This Inner Loop Header: Depth=1
	v_mov_b32_e32 v0, 1
	s_and_saveexec_b32 s1, s0
	s_cbranch_execz .LBB6_585
; %bb.589:                              ;   in Loop: Header=BB6_588 Depth=1
	global_load_b32 v0, v[10:11], off offset:20 scope:SCOPE_SYS
	s_wait_loadcnt 0x0
	global_inv scope:SCOPE_SYS
	v_and_b32_e32 v0, 1, v0
	s_branch .LBB6_585
.LBB6_590:
	s_and_saveexec_b32 s6, s0
	s_cbranch_execz .LBB6_594
; %bb.591:
	v_mov_b32_e32 v6, 0
	s_clause 0x2
	global_load_b64 v[0:1], v6, s[2:3] offset:40
	global_load_b64 v[10:11], v6, s[2:3] offset:24 scope:SCOPE_SYS
	global_load_b64 v[2:3], v6, s[2:3]
	s_wait_loadcnt 0x2
	v_readfirstlane_b32 s8, v0
	v_readfirstlane_b32 s9, v1
	s_add_nc_u64 s[0:1], s[8:9], 1
	s_delay_alu instid0(SALU_CYCLE_1) | instskip(NEXT) | instid1(SALU_CYCLE_1)
	s_add_nc_u64 s[4:5], s[0:1], s[4:5]
	s_cmp_eq_u64 s[4:5], 0
	s_cselect_b32 s1, s1, s5
	s_cselect_b32 s0, s0, s4
	v_mov_b32_e32 v9, s1
	s_and_b64 s[4:5], s[0:1], s[8:9]
	v_mov_b32_e32 v8, s0
	s_mul_u64 s[4:5], s[4:5], 24
	s_wait_loadcnt 0x0
	v_add_nc_u64_e32 v[4:5], s[4:5], v[2:3]
	global_store_b64 v[4:5], v[10:11], off
	global_wb scope:SCOPE_SYS
	s_wait_storecnt 0x0
	s_wait_xcnt 0x0
	global_atomic_cmpswap_b64 v[2:3], v6, v[8:11], s[2:3] offset:24 th:TH_ATOMIC_RETURN scope:SCOPE_SYS
	s_wait_loadcnt 0x0
	v_cmp_ne_u64_e32 vcc_lo, v[2:3], v[10:11]
	s_and_b32 exec_lo, exec_lo, vcc_lo
	s_cbranch_execz .LBB6_594
; %bb.592:
	s_mov_b32 s4, 0
.LBB6_593:                              ; =>This Inner Loop Header: Depth=1
	v_dual_mov_b32 v0, s0 :: v_dual_mov_b32 v1, s1
	s_sleep 1
	global_store_b64 v[4:5], v[2:3], off
	global_wb scope:SCOPE_SYS
	s_wait_storecnt 0x0
	s_wait_xcnt 0x0
	global_atomic_cmpswap_b64 v[0:1], v6, v[0:3], s[2:3] offset:24 th:TH_ATOMIC_RETURN scope:SCOPE_SYS
	s_wait_loadcnt 0x0
	v_cmp_eq_u64_e32 vcc_lo, v[0:1], v[2:3]
	v_mov_b64_e32 v[2:3], v[0:1]
	s_or_b32 s4, vcc_lo, s4
	s_delay_alu instid0(SALU_CYCLE_1)
	s_and_not1_b32 exec_lo, exec_lo, s4
	s_cbranch_execnz .LBB6_593
.LBB6_594:
	s_or_b32 exec_lo, exec_lo, s6
.LBB6_595:
	s_get_pc_i64 s[0:1]
	s_add_nc_u64 s[0:1], s[0:1], .str.29@rel64+4
	s_get_pc_i64 s[2:3]
	s_add_nc_u64 s[2:3], s[2:3], .str.19@rel64+4
	s_get_pc_i64 s[4:5]
	s_add_nc_u64 s[4:5], s[4:5], __PRETTY_FUNCTION__._ZN7VecsMemIjLi8192EE5fetchEi@rel64+4
	v_dual_mov_b32 v0, s0 :: v_dual_mov_b32 v1, s1
	s_wait_loadcnt 0x0
	v_dual_mov_b32 v2, s2 :: v_dual_mov_b32 v3, s3
	v_dual_mov_b32 v4, 12 :: v_dual_mov_b32 v5, s4
	v_mov_b32_e32 v6, s5
	s_get_pc_i64 s[6:7]
	s_add_nc_u64 s[6:7], s[6:7], __assert_fail@rel64+4
	s_mov_b64 s[8:9], s[52:53]
	s_swap_pc_i64 s[30:31], s[6:7]
	s_or_b32 s0, s19, exec_lo
.LBB6_596:
	s_or_b32 exec_lo, exec_lo, s17
	s_delay_alu instid0(SALU_CYCLE_1) | instskip(SKIP_1) | instid1(SALU_CYCLE_1)
	s_and_not1_b32 s1, s19, exec_lo
	s_and_b32 s0, s0, exec_lo
	s_or_b32 s17, s1, s0
	s_or_not1_b32 s0, s24, exec_lo
.LBB6_597:
	s_or_b32 exec_lo, exec_lo, s23
	s_mov_b32 s1, 0
                                        ; implicit-def: $vgpr44
	s_and_saveexec_b32 s42, s0
	s_cbranch_execz .LBB6_1860
; %bb.598:
	v_dual_mov_b32 v1, 0 :: v_dual_mov_b32 v6, 0
	s_mov_b32 s5, 0
	s_mov_b32 s9, 0
	;; [unrolled: 1-line block ×3, first 2 shown]
	s_delay_alu instid0(VALU_DEP_1)
	v_mov_b32_e32 v82, v1
	scratch_store_b64 off, v[80:81], s33 offset:136
                                        ; implicit-def: $sgpr8
	s_branch .LBB6_600
.LBB6_599:                              ;   in Loop: Header=BB6_600 Depth=1
	s_or_b32 exec_lo, exec_lo, s3
	s_xor_b32 s0, s2, -1
	s_and_b32 s1, exec_lo, s1
	s_delay_alu instid0(SALU_CYCLE_1) | instskip(SKIP_2) | instid1(SALU_CYCLE_1)
	s_or_b32 s9, s1, s9
	s_and_not1_b32 s1, s8, exec_lo
	s_and_b32 s0, s0, exec_lo
	s_or_b32 s8, s1, s0
	s_and_not1_b32 exec_lo, exec_lo, s9
	s_cbranch_execz .LBB6_640
.LBB6_600:                              ; =>This Loop Header: Depth=1
                                        ;     Child Loop BB6_603 Depth 2
                                        ;     Child Loop BB6_608 Depth 2
                                        ;       Child Loop BB6_612 Depth 3
                                        ;     Child Loop BB6_621 Depth 2
                                        ;       Child Loop BB6_625 Depth 3
	s_mov_b32 s7, s5
	s_mov_b32 s0, -1
	v_lshl_add_u64 v[2:3], s[6:7], 2, v[66:67]
	s_mov_b32 s7, exec_lo
	flat_load_b32 v0, v[2:3]
	s_wait_loadcnt_dscnt 0x0
	s_wait_xcnt 0x0
	v_cmpx_lt_i32_e32 -1, v0
	s_cbranch_execz .LBB6_638
; %bb.601:                              ;   in Loop: Header=BB6_600 Depth=1
	v_mov_b64_e32 v[4:5], v[68:69]
	s_mov_b32 s0, 0
	s_mov_b32 s1, 0
                                        ; implicit-def: $sgpr2
	s_branch .LBB6_603
.LBB6_602:                              ;   in Loop: Header=BB6_603 Depth=2
	s_or_b32 exec_lo, exec_lo, s3
	s_delay_alu instid0(SALU_CYCLE_1) | instskip(NEXT) | instid1(SALU_CYCLE_1)
	s_and_b32 s3, exec_lo, s2
	s_or_b32 s0, s3, s0
	s_delay_alu instid0(SALU_CYCLE_1)
	s_and_not1_b32 exec_lo, exec_lo, s0
	s_cbranch_execz .LBB6_605
.LBB6_603:                              ;   Parent Loop BB6_600 Depth=1
                                        ; =>  This Inner Loop Header: Depth=2
	flat_load_b32 v8, v[4:5]
	s_or_b32 s2, s2, exec_lo
	s_wait_loadcnt_dscnt 0x0
	v_and_b32_e32 v7, v8, v0
	s_delay_alu instid0(VALU_DEP_1)
	v_cmp_ne_u32_e32 vcc_lo, v7, v8
	v_mov_b32_e32 v7, s1
	s_wait_xcnt 0x0
	s_and_saveexec_b32 s3, vcc_lo
	s_cbranch_execz .LBB6_602
; %bb.604:                              ;   in Loop: Header=BB6_603 Depth=2
	s_add_co_i32 s1, s1, 1
	v_add_nc_u64_e32 v[4:5], 4, v[4:5]
	v_cmp_eq_u32_e32 vcc_lo, s1, v70
	v_mov_b32_e32 v7, v70
	s_and_not1_b32 s2, s2, exec_lo
	s_and_b32 s4, vcc_lo, exec_lo
	s_delay_alu instid0(SALU_CYCLE_1)
	s_or_b32 s2, s2, s4
	s_branch .LBB6_602
.LBB6_605:                              ;   in Loop: Header=BB6_600 Depth=1
	s_or_b32 exec_lo, exec_lo, s0
	s_mov_b32 s0, -1
	s_mov_b32 s10, exec_lo
	v_cmpx_ne_u32_e64 v7, v70
	s_cbranch_execz .LBB6_637
; %bb.606:                              ;   in Loop: Header=BB6_600 Depth=1
	v_bitop3_b32 v8, v0, v8, v0 bitop3:0x30
	s_mov_b32 s3, 0
	v_cmp_lt_i32_e32 vcc_lo, 0, v58
	s_mov_b32 s4, s3
	s_branch .LBB6_608
.LBB6_607:                              ;   in Loop: Header=BB6_608 Depth=2
	s_or_b32 exec_lo, exec_lo, s2
	s_delay_alu instid0(SALU_CYCLE_1) | instskip(NEXT) | instid1(SALU_CYCLE_1)
	s_and_b32 s0, exec_lo, s11
	s_or_b32 s3, s0, s3
	s_delay_alu instid0(SALU_CYCLE_1)
	s_and_not1_b32 exec_lo, exec_lo, s3
	s_cbranch_execz .LBB6_618
.LBB6_608:                              ;   Parent Loop BB6_600 Depth=1
                                        ; =>  This Loop Header: Depth=2
                                        ;       Child Loop BB6_612 Depth 3
	s_mov_b32 s11, -1
	s_mov_b32 s1, -1
	s_mov_b32 s12, exec_lo
	v_cmpx_ne_u32_e64 s4, v7
	s_cbranch_execz .LBB6_616
; %bb.609:                              ;   in Loop: Header=BB6_608 Depth=2
	v_mov_b32_e32 v11, 0
	s_and_saveexec_b32 s13, vcc_lo
	s_cbranch_execz .LBB6_615
; %bb.610:                              ;   in Loop: Header=BB6_608 Depth=2
	v_lshl_add_u64 v[4:5], s[4:5], 2, v[68:69]
	s_mov_b32 s14, 0
	s_mov_b32 s15, 0
                                        ; implicit-def: $sgpr16
	flat_load_b32 v9, v[4:5]
	s_wait_xcnt 0x0
	v_mov_b64_e32 v[4:5], v[66:67]
	s_wait_loadcnt_dscnt 0x0
	v_not_b32_e32 v10, v9
	s_branch .LBB6_612
.LBB6_611:                              ;   in Loop: Header=BB6_612 Depth=3
	s_or_b32 exec_lo, exec_lo, s1
	s_delay_alu instid0(SALU_CYCLE_1) | instskip(NEXT) | instid1(SALU_CYCLE_1)
	s_and_b32 s0, exec_lo, s16
	s_or_b32 s14, s0, s14
	s_delay_alu instid0(SALU_CYCLE_1)
	s_and_not1_b32 exec_lo, exec_lo, s14
	s_cbranch_execz .LBB6_614
.LBB6_612:                              ;   Parent Loop BB6_600 Depth=1
                                        ;     Parent Loop BB6_608 Depth=2
                                        ; =>    This Inner Loop Header: Depth=3
	flat_load_b32 v6, v[4:5]
	s_or_b32 s16, s16, exec_lo
	s_wait_loadcnt_dscnt 0x0
	v_and_b32_e32 v11, v6, v9
	v_and_b32_e32 v12, v6, v10
	v_cmp_gt_i32_e64 s2, 0, v6
	s_delay_alu instid0(VALU_DEP_3) | instskip(SKIP_1) | instid1(VALU_DEP_4)
	v_cmp_ne_u32_e64 s0, v11, v9
	v_mov_b32_e32 v11, s15
	v_cmp_ne_u32_e64 s1, v8, v12
	s_or_b32 s0, s0, s1
	s_delay_alu instid0(SALU_CYCLE_1)
	s_or_b32 s0, s0, s2
	s_wait_xcnt 0x0
	s_and_saveexec_b32 s1, s0
	s_cbranch_execz .LBB6_611
; %bb.613:                              ;   in Loop: Header=BB6_612 Depth=3
	s_add_co_i32 s15, s15, 1
	v_add_nc_u64_e32 v[4:5], 4, v[4:5]
	v_cmp_eq_u32_e64 s0, s15, v58
	v_mov_b32_e32 v11, v58
	s_and_not1_b32 s2, s16, exec_lo
	s_and_b32 s0, s0, exec_lo
	s_delay_alu instid0(SALU_CYCLE_1)
	s_or_b32 s16, s2, s0
	s_branch .LBB6_611
.LBB6_614:                              ;   in Loop: Header=BB6_608 Depth=2
	s_or_b32 exec_lo, exec_lo, s14
.LBB6_615:                              ;   in Loop: Header=BB6_608 Depth=2
	s_delay_alu instid0(SALU_CYCLE_1) | instskip(NEXT) | instid1(VALU_DEP_1)
	s_or_b32 exec_lo, exec_lo, s13
	v_cmp_ne_u32_e64 s0, v11, v58
	s_or_not1_b32 s1, s0, exec_lo
.LBB6_616:                              ;   in Loop: Header=BB6_608 Depth=2
	s_or_b32 exec_lo, exec_lo, s12
	v_mov_b32_e32 v4, s4
	s_and_saveexec_b32 s2, s1
	s_cbranch_execz .LBB6_607
; %bb.617:                              ;   in Loop: Header=BB6_608 Depth=2
	s_add_co_i32 s4, s4, 1
	v_mov_b32_e32 v4, v70
	v_cmp_eq_u32_e64 s0, s4, v70
	s_or_not1_b32 s11, s0, exec_lo
	s_branch .LBB6_607
.LBB6_618:                              ;   in Loop: Header=BB6_600 Depth=1
	s_or_b32 exec_lo, exec_lo, s3
	s_mov_b32 s0, -1
	s_mov_b32 s11, exec_lo
	v_cmpx_eq_u32_e64 v4, v70
	s_cbranch_execz .LBB6_636
; %bb.619:                              ;   in Loop: Header=BB6_600 Depth=1
	v_dual_ashrrev_i32 v83, 31, v82 :: v_dual_add_nc_u32 v9, 1, v82
	s_mov_b32 s12, 0
	v_or_b32_e32 v0, 0x80000000, v0
	s_mov_b32 s4, s12
	s_delay_alu instid0(VALU_DEP_2)
	v_lshl_add_u64 v[4:5], v[82:83], 2, v[80:81]
                                        ; implicit-def: $sgpr13
	scratch_store_b32 off, v9, s33 offset:132
	flat_store_b32 v[4:5], v8
	flat_store_b32 v[2:3], v0
	s_branch .LBB6_621
.LBB6_620:                              ;   in Loop: Header=BB6_621 Depth=2
	s_or_b32 exec_lo, exec_lo, s2
	s_xor_b32 s0, s1, -1
	s_and_b32 s1, exec_lo, s14
	s_delay_alu instid0(SALU_CYCLE_1) | instskip(SKIP_2) | instid1(SALU_CYCLE_1)
	s_or_b32 s12, s1, s12
	s_and_not1_b32 s1, s13, exec_lo
	s_and_b32 s0, s0, exec_lo
	s_or_b32 s13, s1, s0
	s_and_not1_b32 exec_lo, exec_lo, s12
	s_cbranch_execz .LBB6_633
.LBB6_621:                              ;   Parent Loop BB6_600 Depth=1
                                        ; =>  This Loop Header: Depth=2
                                        ;       Child Loop BB6_625 Depth 3
	s_mov_b32 s14, -1
	s_mov_b32 s0, -1
	s_mov_b32 s15, exec_lo
	s_wait_xcnt 0x0
	v_cmpx_ne_u32_e64 s4, v7
	s_cbranch_execz .LBB6_631
; %bb.622:                              ;   in Loop: Header=BB6_621 Depth=2
	flat_load_b32 v0, v[64:65] offset:4
	v_mov_b64_e32 v[4:5], 0
	s_mov_b32 s0, 0
	s_mov_b32 s16, exec_lo
	s_wait_loadcnt_dscnt 0x0
	v_cmpx_lt_i32_e32 0, v0
	s_cbranch_execz .LBB6_628
; %bb.623:                              ;   in Loop: Header=BB6_621 Depth=2
	v_lshl_add_u64 v[2:3], s[4:5], 2, v[68:69]
	s_mov_b64 s[2:3], 0
	s_mov_b32 s23, 0
                                        ; implicit-def: $sgpr24
                                        ; implicit-def: $sgpr44
                                        ; implicit-def: $sgpr43
	flat_load_b32 v10, v[2:3]
	s_wait_xcnt 0x0
	v_mov_b64_e32 v[2:3], v[66:67]
	s_wait_loadcnt_dscnt 0x0
	v_not_b32_e32 v11, v10
	s_branch .LBB6_625
.LBB6_624:                              ;   in Loop: Header=BB6_625 Depth=3
	s_or_b32 exec_lo, exec_lo, s0
	s_delay_alu instid0(SALU_CYCLE_1) | instskip(NEXT) | instid1(SALU_CYCLE_1)
	s_and_b32 s0, exec_lo, s44
	s_or_b32 s23, s0, s23
	s_and_not1_b32 s0, s24, exec_lo
	s_and_b32 s1, s43, exec_lo
	s_delay_alu instid0(SALU_CYCLE_1)
	s_or_b32 s24, s0, s1
	s_and_not1_b32 exec_lo, exec_lo, s23
	s_cbranch_execz .LBB6_627
.LBB6_625:                              ;   Parent Loop BB6_600 Depth=1
                                        ;     Parent Loop BB6_621 Depth=2
                                        ; =>    This Inner Loop Header: Depth=3
	flat_load_b32 v6, v[2:3]
	s_or_b32 s43, s43, exec_lo
	s_or_b32 s44, s44, exec_lo
	s_wait_loadcnt_dscnt 0x0
	v_and_b32_e32 v4, v6, v10
	v_and_b32_e32 v5, v6, v11
	v_cmp_gt_i32_e64 s1, 0, v6
	s_delay_alu instid0(VALU_DEP_3) | instskip(NEXT) | instid1(VALU_DEP_3)
	v_cmp_ne_u32_e32 vcc_lo, v4, v10
	v_cmp_ne_u32_e64 s0, v8, v5
	v_mov_b64_e32 v[4:5], s[2:3]
	s_or_b32 s0, vcc_lo, s0
	s_delay_alu instid0(SALU_CYCLE_1)
	s_or_b32 s1, s0, s1
	s_wait_xcnt 0x0
	s_and_saveexec_b32 s0, s1
	s_cbranch_execz .LBB6_624
; %bb.626:                              ;   in Loop: Header=BB6_625 Depth=3
	s_add_nc_u64 s[2:3], s[2:3], 1
	v_add_nc_u64_e32 v[2:3], 4, v[2:3]
	v_cmp_eq_u32_e32 vcc_lo, s2, v0
	v_mov_b64_e32 v[4:5], v[0:1]
	s_and_not1_b32 s1, s44, exec_lo
	s_and_not1_b32 s43, s43, exec_lo
	s_and_b32 s44, vcc_lo, exec_lo
	s_delay_alu instid0(SALU_CYCLE_1)
	s_or_b32 s44, s1, s44
	s_branch .LBB6_624
.LBB6_627:                              ;   in Loop: Header=BB6_621 Depth=2
	s_or_b32 exec_lo, exec_lo, s23
	s_delay_alu instid0(SALU_CYCLE_1)
	s_and_b32 s0, s24, exec_lo
.LBB6_628:                              ;   in Loop: Header=BB6_621 Depth=2
	s_or_b32 exec_lo, exec_lo, s16
	s_mov_b32 s1, 0
	s_and_saveexec_b32 s2, s0
	s_cbranch_execz .LBB6_630
; %bb.629:                              ;   in Loop: Header=BB6_621 Depth=2
	v_or_b32_e32 v0, 0x80000000, v6
	v_lshl_add_u64 v[2:3], v[4:5], 2, v[66:67]
	s_mov_b32 s1, exec_lo
	flat_store_b32 v[2:3], v0
.LBB6_630:                              ;   in Loop: Header=BB6_621 Depth=2
	s_wait_xcnt 0x0
	s_or_b32 exec_lo, exec_lo, s2
	s_delay_alu instid0(SALU_CYCLE_1)
	s_or_not1_b32 s0, s1, exec_lo
.LBB6_631:                              ;   in Loop: Header=BB6_621 Depth=2
	s_or_b32 exec_lo, exec_lo, s15
	s_mov_b32 s1, -1
	s_and_saveexec_b32 s2, s0
	s_cbranch_execz .LBB6_620
; %bb.632:                              ;   in Loop: Header=BB6_621 Depth=2
	s_add_co_i32 s4, s4, 1
	s_xor_b32 s1, exec_lo, -1
	v_cmp_eq_u32_e32 vcc_lo, s4, v70
	s_or_not1_b32 s14, vcc_lo, exec_lo
	s_branch .LBB6_620
.LBB6_633:                              ;   in Loop: Header=BB6_600 Depth=1
	s_or_b32 exec_lo, exec_lo, s12
	s_mov_b32 s0, 0
                                        ; implicit-def: $vgpr58
	s_and_saveexec_b32 s1, s13
	s_delay_alu instid0(SALU_CYCLE_1)
	s_xor_b32 s1, exec_lo, s1
	s_cbranch_execz .LBB6_635
; %bb.634:                              ;   in Loop: Header=BB6_600 Depth=1
	flat_load_b32 v58, v[64:65] offset:4
	s_mov_b32 s0, exec_lo
.LBB6_635:                              ;   in Loop: Header=BB6_600 Depth=1
	s_wait_xcnt 0x0
	s_or_b32 exec_lo, exec_lo, s1
	v_mov_b32_e32 v82, v9
	s_or_not1_b32 s0, s0, exec_lo
.LBB6_636:                              ;   in Loop: Header=BB6_600 Depth=1
	s_or_b32 exec_lo, exec_lo, s11
	s_delay_alu instid0(SALU_CYCLE_1)
	s_or_not1_b32 s0, s0, exec_lo
.LBB6_637:                              ;   in Loop: Header=BB6_600 Depth=1
	s_or_b32 exec_lo, exec_lo, s10
	s_delay_alu instid0(SALU_CYCLE_1)
	s_or_not1_b32 s0, s0, exec_lo
.LBB6_638:                              ;   in Loop: Header=BB6_600 Depth=1
	s_or_b32 exec_lo, exec_lo, s7
	s_mov_b32 s1, -1
	s_mov_b32 s2, -1
	s_and_saveexec_b32 s3, s0
	s_cbranch_execz .LBB6_599
; %bb.639:                              ;   in Loop: Header=BB6_600 Depth=1
	s_add_co_i32 s6, s6, 1
	s_xor_b32 s2, exec_lo, -1
	s_wait_loadcnt_dscnt 0x0
	v_cmp_ge_i32_e32 vcc_lo, s6, v58
	s_or_not1_b32 s1, vcc_lo, exec_lo
	s_branch .LBB6_599
.LBB6_640:
	s_or_b32 exec_lo, exec_lo, s9
	s_mov_b32 s23, 0
	s_mov_b32 s24, s17
                                        ; implicit-def: $vgpr44
	s_and_saveexec_b32 s0, s8
	s_delay_alu instid0(SALU_CYCLE_1)
	s_xor_b32 s43, exec_lo, s0
	s_cbranch_execz .LBB6_1857
; %bb.641:
	v_mul_lo_u32 v56, v82, v70
	v_mov_b64_e32 v[70:71], 0
	s_mov_b32 s0, -1
	s_mov_b32 s23, s17
	s_mov_b32 s24, exec_lo
	v_mov_b32_e32 v0, 0
	scratch_store_b32 off, v0, s33 offset:164
	s_wait_loadcnt_dscnt 0x0
	v_sub_nc_u32_e32 v68, v58, v56
	s_wait_xcnt 0x0
	s_delay_alu instid0(VALU_DEP_1)
	v_cmpx_lt_i32_e32 0, v68
	s_cbranch_execz .LBB6_788
; %bb.642:
	flat_load_b32 v0, v[60:61]
	v_mov_b64_e32 v[70:71], 0
	s_mov_b32 s44, 0
	s_mov_b32 s0, exec_lo
	s_wait_loadcnt_dscnt 0x0
	v_add_nc_u32_e32 v0, v0, v68
	s_wait_xcnt 0x0
	s_delay_alu instid0(VALU_DEP_1)
	v_cmpx_gt_i32_e32 0x2001, v0
	s_xor_b32 s0, exec_lo, s0
	s_cbranch_execz .LBB6_644
; %bb.643:
	v_dual_mov_b32 v69, 0 :: v_dual_ashrrev_i32 v1, 31, v0
	s_mov_b32 s44, exec_lo
	flat_store_b32 v[60:61], v0
	v_lshlrev_b64_e32 v[2:3], 2, v[68:69]
	v_lshl_add_u64 v[4:5], v[0:1], 2, v[60:61]
	s_delay_alu instid0(VALU_DEP_1) | instskip(NEXT) | instid1(VALU_DEP_1)
	v_sub_nc_u64_e32 v[2:3], v[4:5], v[2:3]
	v_add_nc_u64_e32 v[70:71], 4, v[2:3]
.LBB6_644:
	s_wait_xcnt 0x0
	s_or_saveexec_b32 s23, s0
	s_mov_b32 s0, s17
	s_xor_b32 exec_lo, exec_lo, s23
	s_cbranch_execz .LBB6_787
; %bb.645:
	s_load_b64 s[2:3], s[52:53], 0x50
	v_mbcnt_lo_u32_b32 v32, -1, 0
	v_mov_b64_e32 v[2:3], 0
	s_delay_alu instid0(VALU_DEP_2) | instskip(NEXT) | instid1(VALU_DEP_1)
	v_readfirstlane_b32 s0, v32
	v_cmp_eq_u32_e64 s0, s0, v32
	s_and_saveexec_b32 s1, s0
	s_cbranch_execz .LBB6_651
; %bb.646:
	v_mov_b32_e32 v0, 0
	s_mov_b32 s4, exec_lo
	s_wait_kmcnt 0x0
	global_load_b64 v[4:5], v0, s[2:3] offset:24 scope:SCOPE_SYS
	s_wait_loadcnt 0x0
	global_inv scope:SCOPE_SYS
	s_clause 0x1
	global_load_b64 v[2:3], v0, s[2:3] offset:40
	global_load_b64 v[6:7], v0, s[2:3]
	s_wait_loadcnt 0x1
	v_and_b32_e32 v2, v2, v4
	v_and_b32_e32 v3, v3, v5
	s_delay_alu instid0(VALU_DEP_1) | instskip(SKIP_1) | instid1(VALU_DEP_1)
	v_mul_u64_e32 v[2:3], 24, v[2:3]
	s_wait_loadcnt 0x0
	v_add_nc_u64_e32 v[2:3], v[6:7], v[2:3]
	global_load_b64 v[2:3], v[2:3], off scope:SCOPE_SYS
	s_wait_xcnt 0x0
	s_wait_loadcnt 0x0
	global_atomic_cmpswap_b64 v[2:3], v0, v[2:5], s[2:3] offset:24 th:TH_ATOMIC_RETURN scope:SCOPE_SYS
	s_wait_loadcnt 0x0
	global_inv scope:SCOPE_SYS
	s_wait_xcnt 0x0
	v_cmpx_ne_u64_e64 v[2:3], v[4:5]
	s_cbranch_execz .LBB6_650
; %bb.647:
	s_mov_b32 s5, 0
.LBB6_648:                              ; =>This Inner Loop Header: Depth=1
	s_sleep 1
	s_clause 0x1
	global_load_b64 v[6:7], v0, s[2:3] offset:40
	global_load_b64 v[8:9], v0, s[2:3]
	v_mov_b64_e32 v[4:5], v[2:3]
	s_wait_loadcnt 0x1
	s_delay_alu instid0(VALU_DEP_1) | instskip(SKIP_1) | instid1(VALU_DEP_1)
	v_and_b32_e32 v1, v6, v4
	s_wait_loadcnt 0x0
	v_mad_nc_u64_u32 v[2:3], v1, 24, v[8:9]
	s_delay_alu instid0(VALU_DEP_3) | instskip(NEXT) | instid1(VALU_DEP_1)
	v_and_b32_e32 v1, v7, v5
	v_mad_u32 v3, v1, 24, v3
	global_load_b64 v[2:3], v[2:3], off scope:SCOPE_SYS
	s_wait_xcnt 0x0
	s_wait_loadcnt 0x0
	global_atomic_cmpswap_b64 v[2:3], v0, v[2:5], s[2:3] offset:24 th:TH_ATOMIC_RETURN scope:SCOPE_SYS
	s_wait_loadcnt 0x0
	global_inv scope:SCOPE_SYS
	v_cmp_eq_u64_e32 vcc_lo, v[2:3], v[4:5]
	s_or_b32 s5, vcc_lo, s5
	s_wait_xcnt 0x0
	s_and_not1_b32 exec_lo, exec_lo, s5
	s_cbranch_execnz .LBB6_648
; %bb.649:
	s_or_b32 exec_lo, exec_lo, s5
.LBB6_650:
	s_delay_alu instid0(SALU_CYCLE_1)
	s_or_b32 exec_lo, exec_lo, s4
.LBB6_651:
	s_delay_alu instid0(SALU_CYCLE_1)
	s_or_b32 exec_lo, exec_lo, s1
	v_readfirstlane_b32 s4, v2
	v_mov_b32_e32 v1, 0
	v_readfirstlane_b32 s5, v3
	s_mov_b32 s1, exec_lo
	s_wait_kmcnt 0x0
	s_clause 0x1
	global_load_b64 v[8:9], v1, s[2:3] offset:40
	global_load_b128 v[4:7], v1, s[2:3]
	s_wait_loadcnt 0x1
	v_and_b32_e32 v10, s4, v8
	v_and_b32_e32 v11, s5, v9
	s_delay_alu instid0(VALU_DEP_1) | instskip(SKIP_1) | instid1(VALU_DEP_1)
	v_mul_u64_e32 v[2:3], 24, v[10:11]
	s_wait_loadcnt 0x0
	v_add_nc_u64_e32 v[8:9], v[4:5], v[2:3]
	s_wait_xcnt 0x0
	s_and_saveexec_b32 s6, s0
	s_cbranch_execz .LBB6_653
; %bb.652:
	v_mov_b64_e32 v[2:3], 0x100000002
	v_mov_b32_e32 v0, s1
	global_store_b128 v[8:9], v[0:3], off offset:8
.LBB6_653:
	s_wait_xcnt 0x0
	s_or_b32 exec_lo, exec_lo, s6
	v_lshlrev_b64_e32 v[2:3], 12, v[10:11]
	s_mov_b32 s8, 0
	v_dual_lshlrev_b32 v0, 6, v32 :: v_dual_mov_b32 v10, 33
	s_mov_b32 s10, s8
	s_mov_b32 s11, s8
	;; [unrolled: 1-line block ×3, first 2 shown]
	s_delay_alu instid0(VALU_DEP_2)
	v_add_nc_u64_e32 v[6:7], v[6:7], v[2:3]
	v_mov_b64_e32 v[16:17], s[10:11]
	v_mov_b64_e32 v[14:15], s[8:9]
	v_dual_mov_b32 v11, v1 :: v_dual_mov_b32 v12, v1
	v_mov_b32_e32 v13, v1
	v_readfirstlane_b32 s6, v6
	v_readfirstlane_b32 s7, v7
	s_clause 0x3
	global_store_b128 v0, v[10:13], s[6:7]
	global_store_b128 v0, v[14:17], s[6:7] offset:16
	global_store_b128 v0, v[14:17], s[6:7] offset:32
	global_store_b128 v0, v[14:17], s[6:7] offset:48
	s_wait_xcnt 0x0
	s_and_saveexec_b32 s1, s0
	s_cbranch_execz .LBB6_661
; %bb.654:
	v_dual_mov_b32 v12, 0 :: v_dual_mov_b32 v15, s5
	s_mov_b32 s6, exec_lo
	s_clause 0x1
	global_load_b64 v[16:17], v12, s[2:3] offset:32 scope:SCOPE_SYS
	global_load_b64 v[2:3], v12, s[2:3] offset:40
	s_wait_loadcnt 0x0
	v_dual_mov_b32 v14, s4 :: v_dual_bitop2_b32 v3, s5, v3 bitop3:0x40
	v_and_b32_e32 v2, s4, v2
	s_delay_alu instid0(VALU_DEP_1) | instskip(NEXT) | instid1(VALU_DEP_1)
	v_mul_u64_e32 v[2:3], 24, v[2:3]
	v_add_nc_u64_e32 v[10:11], v[4:5], v[2:3]
	global_store_b64 v[10:11], v[16:17], off
	global_wb scope:SCOPE_SYS
	s_wait_storecnt 0x0
	s_wait_xcnt 0x0
	global_atomic_cmpswap_b64 v[4:5], v12, v[14:17], s[2:3] offset:32 th:TH_ATOMIC_RETURN scope:SCOPE_SYS
	s_wait_loadcnt 0x0
	v_cmpx_ne_u64_e64 v[4:5], v[16:17]
	s_cbranch_execz .LBB6_657
; %bb.655:
	s_mov_b32 s7, 0
.LBB6_656:                              ; =>This Inner Loop Header: Depth=1
	v_dual_mov_b32 v2, s4 :: v_dual_mov_b32 v3, s5
	s_sleep 1
	global_store_b64 v[10:11], v[4:5], off
	global_wb scope:SCOPE_SYS
	s_wait_storecnt 0x0
	s_wait_xcnt 0x0
	global_atomic_cmpswap_b64 v[2:3], v12, v[2:5], s[2:3] offset:32 th:TH_ATOMIC_RETURN scope:SCOPE_SYS
	s_wait_loadcnt 0x0
	v_cmp_eq_u64_e32 vcc_lo, v[2:3], v[4:5]
	v_mov_b64_e32 v[4:5], v[2:3]
	s_or_b32 s7, vcc_lo, s7
	s_delay_alu instid0(SALU_CYCLE_1)
	s_and_not1_b32 exec_lo, exec_lo, s7
	s_cbranch_execnz .LBB6_656
.LBB6_657:
	s_or_b32 exec_lo, exec_lo, s6
	v_mov_b32_e32 v5, 0
	s_mov_b32 s7, exec_lo
	s_mov_b32 s6, exec_lo
	v_mbcnt_lo_u32_b32 v4, s7, 0
	global_load_b64 v[2:3], v5, s[2:3] offset:16
	s_wait_xcnt 0x0
	v_cmpx_eq_u32_e32 0, v4
	s_cbranch_execz .LBB6_659
; %bb.658:
	s_bcnt1_i32_b32 s7, s7
	s_delay_alu instid0(SALU_CYCLE_1)
	v_mov_b32_e32 v4, s7
	global_wb scope:SCOPE_SYS
	s_wait_loadcnt 0x0
	s_wait_storecnt 0x0
	global_atomic_add_u64 v[2:3], v[4:5], off offset:8 scope:SCOPE_SYS
.LBB6_659:
	s_wait_xcnt 0x0
	s_or_b32 exec_lo, exec_lo, s6
	s_wait_loadcnt 0x0
	global_load_b64 v[4:5], v[2:3], off offset:16
	s_wait_loadcnt 0x0
	v_cmp_eq_u64_e32 vcc_lo, 0, v[4:5]
	s_cbranch_vccnz .LBB6_661
; %bb.660:
	global_load_b32 v2, v[2:3], off offset:24
	s_wait_xcnt 0x0
	v_mov_b32_e32 v3, 0
	s_wait_loadcnt 0x0
	v_readfirstlane_b32 s6, v2
	global_wb scope:SCOPE_SYS
	s_wait_storecnt 0x0
	global_store_b64 v[4:5], v[2:3], off scope:SCOPE_SYS
	s_and_b32 m0, s6, 0xffffff
	s_sendmsg sendmsg(MSG_INTERRUPT)
.LBB6_661:
	s_wait_xcnt 0x0
	s_or_b32 exec_lo, exec_lo, s1
	v_add_nc_u64_e32 v[2:3], v[6:7], v[0:1]
	s_branch .LBB6_665
.LBB6_662:                              ;   in Loop: Header=BB6_665 Depth=1
	s_wait_xcnt 0x0
	s_or_b32 exec_lo, exec_lo, s1
	s_delay_alu instid0(VALU_DEP_1)
	v_readfirstlane_b32 s1, v1
	s_cmp_eq_u32 s1, 0
	s_cbranch_scc1 .LBB6_664
; %bb.663:                              ;   in Loop: Header=BB6_665 Depth=1
	s_sleep 1
	s_cbranch_execnz .LBB6_665
	s_branch .LBB6_667
.LBB6_664:
	s_branch .LBB6_667
.LBB6_665:                              ; =>This Inner Loop Header: Depth=1
	v_mov_b32_e32 v1, 1
	s_and_saveexec_b32 s1, s0
	s_cbranch_execz .LBB6_662
; %bb.666:                              ;   in Loop: Header=BB6_665 Depth=1
	global_load_b32 v1, v[8:9], off offset:20 scope:SCOPE_SYS
	s_wait_loadcnt 0x0
	global_inv scope:SCOPE_SYS
	v_and_b32_e32 v1, 1, v1
	s_branch .LBB6_662
.LBB6_667:
	global_load_b64 v[2:3], v[2:3], off
	s_wait_xcnt 0x0
	s_and_saveexec_b32 s6, s0
	s_cbranch_execz .LBB6_671
; %bb.668:
	v_mov_b32_e32 v1, 0
	s_clause 0x2
	global_load_b64 v[4:5], v1, s[2:3] offset:40
	global_load_b64 v[12:13], v1, s[2:3] offset:24 scope:SCOPE_SYS
	global_load_b64 v[6:7], v1, s[2:3]
	s_wait_loadcnt 0x2
	v_readfirstlane_b32 s8, v4
	v_readfirstlane_b32 s9, v5
	s_add_nc_u64 s[0:1], s[8:9], 1
	s_delay_alu instid0(SALU_CYCLE_1) | instskip(NEXT) | instid1(SALU_CYCLE_1)
	s_add_nc_u64 s[4:5], s[0:1], s[4:5]
	s_cmp_eq_u64 s[4:5], 0
	s_cselect_b32 s1, s1, s5
	s_cselect_b32 s0, s0, s4
	v_mov_b32_e32 v11, s1
	s_and_b64 s[4:5], s[0:1], s[8:9]
	v_mov_b32_e32 v10, s0
	s_mul_u64 s[4:5], s[4:5], 24
	s_wait_loadcnt 0x0
	v_add_nc_u64_e32 v[8:9], s[4:5], v[6:7]
	global_store_b64 v[8:9], v[12:13], off
	global_wb scope:SCOPE_SYS
	s_wait_storecnt 0x0
	s_wait_xcnt 0x0
	global_atomic_cmpswap_b64 v[6:7], v1, v[10:13], s[2:3] offset:24 th:TH_ATOMIC_RETURN scope:SCOPE_SYS
	s_wait_loadcnt 0x0
	v_cmp_ne_u64_e32 vcc_lo, v[6:7], v[12:13]
	s_and_b32 exec_lo, exec_lo, vcc_lo
	s_cbranch_execz .LBB6_671
; %bb.669:
	s_mov_b32 s4, 0
.LBB6_670:                              ; =>This Inner Loop Header: Depth=1
	v_dual_mov_b32 v4, s0 :: v_dual_mov_b32 v5, s1
	s_sleep 1
	global_store_b64 v[8:9], v[6:7], off
	global_wb scope:SCOPE_SYS
	s_wait_storecnt 0x0
	s_wait_xcnt 0x0
	global_atomic_cmpswap_b64 v[4:5], v1, v[4:7], s[2:3] offset:24 th:TH_ATOMIC_RETURN scope:SCOPE_SYS
	s_wait_loadcnt 0x0
	v_cmp_eq_u64_e32 vcc_lo, v[4:5], v[6:7]
	v_mov_b64_e32 v[6:7], v[4:5]
	s_or_b32 s4, vcc_lo, s4
	s_delay_alu instid0(SALU_CYCLE_1)
	s_and_not1_b32 exec_lo, exec_lo, s4
	s_cbranch_execnz .LBB6_670
.LBB6_671:
	s_or_b32 exec_lo, exec_lo, s6
	s_get_pc_i64 s[4:5]
	s_add_nc_u64 s[4:5], s[4:5], .str.28@rel64+4
	s_delay_alu instid0(SALU_CYCLE_1)
	s_cmp_lg_u64 s[4:5], 0
	s_cbranch_scc0 .LBB6_757
; %bb.672:
	v_mov_b64_e32 v[6:7], 0x100000002
	s_wait_loadcnt 0x0
	v_dual_mov_b32 v9, v3 :: v_dual_bitop2_b32 v8, -3, v2 bitop3:0x40
	v_mov_b32_e32 v5, 0
	s_mov_b64 s[6:7], 35
	s_branch .LBB6_674
.LBB6_673:                              ;   in Loop: Header=BB6_674 Depth=1
	s_or_b32 exec_lo, exec_lo, s12
	s_sub_nc_u64 s[6:7], s[6:7], s[8:9]
	s_add_nc_u64 s[4:5], s[4:5], s[8:9]
	s_cmp_lg_u64 s[6:7], 0
	s_cbranch_scc0 .LBB6_756
.LBB6_674:                              ; =>This Loop Header: Depth=1
                                        ;     Child Loop BB6_677 Depth 2
                                        ;     Child Loop BB6_685 Depth 2
	;; [unrolled: 1-line block ×11, first 2 shown]
	s_wait_loadcnt 0x0
	v_min_u64 v[10:11], s[6:7], 56
	v_cmp_gt_u64_e64 s0, s[6:7], 7
	s_and_b32 vcc_lo, exec_lo, s0
	v_readfirstlane_b32 s8, v10
	v_readfirstlane_b32 s9, v11
	s_cbranch_vccnz .LBB6_679
; %bb.675:                              ;   in Loop: Header=BB6_674 Depth=1
	v_mov_b64_e32 v[10:11], 0
	s_cmp_eq_u64 s[6:7], 0
	s_cbranch_scc1 .LBB6_678
; %bb.676:                              ;   in Loop: Header=BB6_674 Depth=1
	s_mov_b64 s[0:1], 0
	s_mov_b64 s[10:11], 0
.LBB6_677:                              ;   Parent Loop BB6_674 Depth=1
                                        ; =>  This Inner Loop Header: Depth=2
	s_wait_xcnt 0x0
	s_add_nc_u64 s[12:13], s[4:5], s[10:11]
	s_add_nc_u64 s[10:11], s[10:11], 1
	global_load_u8 v1, v5, s[12:13]
	s_cmp_lg_u32 s8, s10
	s_wait_loadcnt 0x0
	v_and_b32_e32 v4, 0xffff, v1
	s_delay_alu instid0(VALU_DEP_1) | instskip(SKIP_1) | instid1(VALU_DEP_1)
	v_lshlrev_b64_e32 v[12:13], s0, v[4:5]
	s_add_nc_u64 s[0:1], s[0:1], 8
	v_or_b32_e32 v10, v12, v10
	s_delay_alu instid0(VALU_DEP_2)
	v_or_b32_e32 v11, v13, v11
	s_cbranch_scc1 .LBB6_677
.LBB6_678:                              ;   in Loop: Header=BB6_674 Depth=1
	s_mov_b32 s0, 0
	s_mov_b64 s[10:11], s[4:5]
	s_branch .LBB6_680
.LBB6_679:                              ;   in Loop: Header=BB6_674 Depth=1
	s_add_nc_u64 s[10:11], s[4:5], 8
	s_mov_b32 s0, -1
.LBB6_680:                              ;   in Loop: Header=BB6_674 Depth=1
	s_delay_alu instid0(SALU_CYCLE_1)
	s_and_not1_b32 vcc_lo, exec_lo, s0
	s_mov_b32 s14, 0
	s_cbranch_vccnz .LBB6_682
; %bb.681:                              ;   in Loop: Header=BB6_674 Depth=1
	global_load_b64 v[10:11], v5, s[4:5]
	s_add_co_i32 s14, s8, -8
.LBB6_682:                              ;   in Loop: Header=BB6_674 Depth=1
	s_delay_alu instid0(SALU_CYCLE_1)
	s_cmp_gt_u32 s14, 7
	s_cbranch_scc1 .LBB6_687
; %bb.683:                              ;   in Loop: Header=BB6_674 Depth=1
	v_mov_b64_e32 v[12:13], 0
	s_cmp_eq_u32 s14, 0
	s_cbranch_scc1 .LBB6_686
; %bb.684:                              ;   in Loop: Header=BB6_674 Depth=1
	s_mov_b64 s[0:1], 0
	s_wait_xcnt 0x0
	s_mov_b64 s[12:13], 0
.LBB6_685:                              ;   Parent Loop BB6_674 Depth=1
                                        ; =>  This Inner Loop Header: Depth=2
	s_wait_xcnt 0x0
	s_add_nc_u64 s[46:47], s[10:11], s[12:13]
	s_add_nc_u64 s[12:13], s[12:13], 1
	global_load_u8 v1, v5, s[46:47]
	s_cmp_lg_u32 s14, s12
	s_wait_loadcnt 0x0
	v_and_b32_e32 v4, 0xffff, v1
	s_delay_alu instid0(VALU_DEP_1) | instskip(SKIP_1) | instid1(VALU_DEP_1)
	v_lshlrev_b64_e32 v[14:15], s0, v[4:5]
	s_add_nc_u64 s[0:1], s[0:1], 8
	v_or_b32_e32 v12, v14, v12
	s_delay_alu instid0(VALU_DEP_2)
	v_or_b32_e32 v13, v15, v13
	s_cbranch_scc1 .LBB6_685
.LBB6_686:                              ;   in Loop: Header=BB6_674 Depth=1
	s_wait_xcnt 0x0
	s_mov_b32 s12, 0
	s_mov_b64 s[0:1], s[10:11]
	s_branch .LBB6_688
.LBB6_687:                              ;   in Loop: Header=BB6_674 Depth=1
	s_add_nc_u64 s[0:1], s[10:11], 8
	s_wait_xcnt 0x0
	s_mov_b32 s12, -1
                                        ; implicit-def: $vgpr12_vgpr13
.LBB6_688:                              ;   in Loop: Header=BB6_674 Depth=1
	s_delay_alu instid0(SALU_CYCLE_1)
	s_and_not1_b32 vcc_lo, exec_lo, s12
	s_mov_b32 s15, 0
	s_cbranch_vccnz .LBB6_690
; %bb.689:                              ;   in Loop: Header=BB6_674 Depth=1
	global_load_b64 v[12:13], v5, s[10:11]
	s_add_co_i32 s15, s14, -8
.LBB6_690:                              ;   in Loop: Header=BB6_674 Depth=1
	s_delay_alu instid0(SALU_CYCLE_1)
	s_cmp_gt_u32 s15, 7
	s_cbranch_scc1 .LBB6_695
; %bb.691:                              ;   in Loop: Header=BB6_674 Depth=1
	v_mov_b64_e32 v[14:15], 0
	s_cmp_eq_u32 s15, 0
	s_cbranch_scc1 .LBB6_694
; %bb.692:                              ;   in Loop: Header=BB6_674 Depth=1
	s_wait_xcnt 0x0
	s_mov_b64 s[10:11], 0
	s_mov_b64 s[12:13], 0
.LBB6_693:                              ;   Parent Loop BB6_674 Depth=1
                                        ; =>  This Inner Loop Header: Depth=2
	s_wait_xcnt 0x0
	s_add_nc_u64 s[46:47], s[0:1], s[12:13]
	s_add_nc_u64 s[12:13], s[12:13], 1
	global_load_u8 v1, v5, s[46:47]
	s_cmp_lg_u32 s15, s12
	s_wait_loadcnt 0x0
	v_and_b32_e32 v4, 0xffff, v1
	s_delay_alu instid0(VALU_DEP_1) | instskip(SKIP_1) | instid1(VALU_DEP_1)
	v_lshlrev_b64_e32 v[16:17], s10, v[4:5]
	s_add_nc_u64 s[10:11], s[10:11], 8
	v_or_b32_e32 v14, v16, v14
	s_delay_alu instid0(VALU_DEP_2)
	v_or_b32_e32 v15, v17, v15
	s_cbranch_scc1 .LBB6_693
.LBB6_694:                              ;   in Loop: Header=BB6_674 Depth=1
	s_mov_b32 s12, 0
	s_wait_xcnt 0x0
	s_mov_b64 s[10:11], s[0:1]
	s_branch .LBB6_696
.LBB6_695:                              ;   in Loop: Header=BB6_674 Depth=1
	s_wait_xcnt 0x0
	s_add_nc_u64 s[10:11], s[0:1], 8
	s_mov_b32 s12, -1
.LBB6_696:                              ;   in Loop: Header=BB6_674 Depth=1
	s_delay_alu instid0(SALU_CYCLE_1)
	s_and_not1_b32 vcc_lo, exec_lo, s12
	s_mov_b32 s14, 0
	s_cbranch_vccnz .LBB6_698
; %bb.697:                              ;   in Loop: Header=BB6_674 Depth=1
	global_load_b64 v[14:15], v5, s[0:1]
	s_add_co_i32 s14, s15, -8
.LBB6_698:                              ;   in Loop: Header=BB6_674 Depth=1
	s_delay_alu instid0(SALU_CYCLE_1)
	s_cmp_gt_u32 s14, 7
	s_cbranch_scc1 .LBB6_703
; %bb.699:                              ;   in Loop: Header=BB6_674 Depth=1
	v_mov_b64_e32 v[16:17], 0
	s_cmp_eq_u32 s14, 0
	s_cbranch_scc1 .LBB6_702
; %bb.700:                              ;   in Loop: Header=BB6_674 Depth=1
	s_wait_xcnt 0x0
	s_mov_b64 s[0:1], 0
	s_mov_b64 s[12:13], 0
.LBB6_701:                              ;   Parent Loop BB6_674 Depth=1
                                        ; =>  This Inner Loop Header: Depth=2
	s_wait_xcnt 0x0
	s_add_nc_u64 s[46:47], s[10:11], s[12:13]
	s_add_nc_u64 s[12:13], s[12:13], 1
	global_load_u8 v1, v5, s[46:47]
	s_cmp_lg_u32 s14, s12
	s_wait_loadcnt 0x0
	v_and_b32_e32 v4, 0xffff, v1
	s_delay_alu instid0(VALU_DEP_1) | instskip(SKIP_1) | instid1(VALU_DEP_1)
	v_lshlrev_b64_e32 v[18:19], s0, v[4:5]
	s_add_nc_u64 s[0:1], s[0:1], 8
	v_or_b32_e32 v16, v18, v16
	s_delay_alu instid0(VALU_DEP_2)
	v_or_b32_e32 v17, v19, v17
	s_cbranch_scc1 .LBB6_701
.LBB6_702:                              ;   in Loop: Header=BB6_674 Depth=1
	s_mov_b32 s12, 0
	s_wait_xcnt 0x0
	s_mov_b64 s[0:1], s[10:11]
	s_branch .LBB6_704
.LBB6_703:                              ;   in Loop: Header=BB6_674 Depth=1
	s_wait_xcnt 0x0
	s_add_nc_u64 s[0:1], s[10:11], 8
	s_mov_b32 s12, -1
                                        ; implicit-def: $vgpr16_vgpr17
.LBB6_704:                              ;   in Loop: Header=BB6_674 Depth=1
	s_delay_alu instid0(SALU_CYCLE_1)
	s_and_not1_b32 vcc_lo, exec_lo, s12
	s_mov_b32 s15, 0
	s_cbranch_vccnz .LBB6_706
; %bb.705:                              ;   in Loop: Header=BB6_674 Depth=1
	global_load_b64 v[16:17], v5, s[10:11]
	s_add_co_i32 s15, s14, -8
.LBB6_706:                              ;   in Loop: Header=BB6_674 Depth=1
	s_delay_alu instid0(SALU_CYCLE_1)
	s_cmp_gt_u32 s15, 7
	s_cbranch_scc1 .LBB6_711
; %bb.707:                              ;   in Loop: Header=BB6_674 Depth=1
	v_mov_b64_e32 v[18:19], 0
	s_cmp_eq_u32 s15, 0
	s_cbranch_scc1 .LBB6_710
; %bb.708:                              ;   in Loop: Header=BB6_674 Depth=1
	s_wait_xcnt 0x0
	s_mov_b64 s[10:11], 0
	s_mov_b64 s[12:13], 0
.LBB6_709:                              ;   Parent Loop BB6_674 Depth=1
                                        ; =>  This Inner Loop Header: Depth=2
	s_wait_xcnt 0x0
	s_add_nc_u64 s[46:47], s[0:1], s[12:13]
	s_add_nc_u64 s[12:13], s[12:13], 1
	global_load_u8 v1, v5, s[46:47]
	s_cmp_lg_u32 s15, s12
	s_wait_loadcnt 0x0
	v_and_b32_e32 v4, 0xffff, v1
	s_delay_alu instid0(VALU_DEP_1) | instskip(SKIP_1) | instid1(VALU_DEP_1)
	v_lshlrev_b64_e32 v[20:21], s10, v[4:5]
	s_add_nc_u64 s[10:11], s[10:11], 8
	v_or_b32_e32 v18, v20, v18
	s_delay_alu instid0(VALU_DEP_2)
	v_or_b32_e32 v19, v21, v19
	s_cbranch_scc1 .LBB6_709
.LBB6_710:                              ;   in Loop: Header=BB6_674 Depth=1
	s_mov_b32 s12, 0
	s_wait_xcnt 0x0
	s_mov_b64 s[10:11], s[0:1]
	s_branch .LBB6_712
.LBB6_711:                              ;   in Loop: Header=BB6_674 Depth=1
	s_wait_xcnt 0x0
	s_add_nc_u64 s[10:11], s[0:1], 8
	s_mov_b32 s12, -1
.LBB6_712:                              ;   in Loop: Header=BB6_674 Depth=1
	s_delay_alu instid0(SALU_CYCLE_1)
	s_and_not1_b32 vcc_lo, exec_lo, s12
	s_mov_b32 s14, 0
	s_cbranch_vccnz .LBB6_714
; %bb.713:                              ;   in Loop: Header=BB6_674 Depth=1
	global_load_b64 v[18:19], v5, s[0:1]
	s_add_co_i32 s14, s15, -8
.LBB6_714:                              ;   in Loop: Header=BB6_674 Depth=1
	s_delay_alu instid0(SALU_CYCLE_1)
	s_cmp_gt_u32 s14, 7
	s_cbranch_scc1 .LBB6_719
; %bb.715:                              ;   in Loop: Header=BB6_674 Depth=1
	v_mov_b64_e32 v[20:21], 0
	s_cmp_eq_u32 s14, 0
	s_cbranch_scc1 .LBB6_718
; %bb.716:                              ;   in Loop: Header=BB6_674 Depth=1
	s_wait_xcnt 0x0
	s_mov_b64 s[0:1], 0
	s_mov_b64 s[12:13], 0
.LBB6_717:                              ;   Parent Loop BB6_674 Depth=1
                                        ; =>  This Inner Loop Header: Depth=2
	s_wait_xcnt 0x0
	s_add_nc_u64 s[46:47], s[10:11], s[12:13]
	s_add_nc_u64 s[12:13], s[12:13], 1
	global_load_u8 v1, v5, s[46:47]
	s_cmp_lg_u32 s14, s12
	s_wait_loadcnt 0x0
	v_and_b32_e32 v4, 0xffff, v1
	s_delay_alu instid0(VALU_DEP_1) | instskip(SKIP_1) | instid1(VALU_DEP_1)
	v_lshlrev_b64_e32 v[22:23], s0, v[4:5]
	s_add_nc_u64 s[0:1], s[0:1], 8
	v_or_b32_e32 v20, v22, v20
	s_delay_alu instid0(VALU_DEP_2)
	v_or_b32_e32 v21, v23, v21
	s_cbranch_scc1 .LBB6_717
.LBB6_718:                              ;   in Loop: Header=BB6_674 Depth=1
	s_mov_b32 s12, 0
	s_wait_xcnt 0x0
	s_mov_b64 s[0:1], s[10:11]
	s_branch .LBB6_720
.LBB6_719:                              ;   in Loop: Header=BB6_674 Depth=1
	s_wait_xcnt 0x0
	s_add_nc_u64 s[0:1], s[10:11], 8
	s_mov_b32 s12, -1
                                        ; implicit-def: $vgpr20_vgpr21
.LBB6_720:                              ;   in Loop: Header=BB6_674 Depth=1
	s_delay_alu instid0(SALU_CYCLE_1)
	s_and_not1_b32 vcc_lo, exec_lo, s12
	s_mov_b32 s15, 0
	s_cbranch_vccnz .LBB6_722
; %bb.721:                              ;   in Loop: Header=BB6_674 Depth=1
	global_load_b64 v[20:21], v5, s[10:11]
	s_add_co_i32 s15, s14, -8
.LBB6_722:                              ;   in Loop: Header=BB6_674 Depth=1
	s_delay_alu instid0(SALU_CYCLE_1)
	s_cmp_gt_u32 s15, 7
	s_cbranch_scc1 .LBB6_727
; %bb.723:                              ;   in Loop: Header=BB6_674 Depth=1
	v_mov_b64_e32 v[22:23], 0
	s_cmp_eq_u32 s15, 0
	s_cbranch_scc1 .LBB6_726
; %bb.724:                              ;   in Loop: Header=BB6_674 Depth=1
	s_wait_xcnt 0x0
	s_mov_b64 s[10:11], 0
	s_mov_b64 s[12:13], s[0:1]
.LBB6_725:                              ;   Parent Loop BB6_674 Depth=1
                                        ; =>  This Inner Loop Header: Depth=2
	global_load_u8 v1, v5, s[12:13]
	s_add_co_i32 s15, s15, -1
	s_wait_xcnt 0x0
	s_add_nc_u64 s[12:13], s[12:13], 1
	s_cmp_lg_u32 s15, 0
	s_wait_loadcnt 0x0
	v_and_b32_e32 v4, 0xffff, v1
	s_delay_alu instid0(VALU_DEP_1) | instskip(SKIP_1) | instid1(VALU_DEP_1)
	v_lshlrev_b64_e32 v[24:25], s10, v[4:5]
	s_add_nc_u64 s[10:11], s[10:11], 8
	v_or_b32_e32 v22, v24, v22
	s_delay_alu instid0(VALU_DEP_2)
	v_or_b32_e32 v23, v25, v23
	s_cbranch_scc1 .LBB6_725
.LBB6_726:                              ;   in Loop: Header=BB6_674 Depth=1
	s_wait_xcnt 0x0
	s_mov_b32 s10, 0
	s_branch .LBB6_728
.LBB6_727:                              ;   in Loop: Header=BB6_674 Depth=1
	s_wait_xcnt 0x0
	s_mov_b32 s10, -1
.LBB6_728:                              ;   in Loop: Header=BB6_674 Depth=1
	s_delay_alu instid0(SALU_CYCLE_1)
	s_and_not1_b32 vcc_lo, exec_lo, s10
	s_cbranch_vccnz .LBB6_730
; %bb.729:                              ;   in Loop: Header=BB6_674 Depth=1
	global_load_b64 v[22:23], v5, s[0:1]
.LBB6_730:                              ;   in Loop: Header=BB6_674 Depth=1
	s_wait_xcnt 0x0
	v_readfirstlane_b32 s0, v32
	v_mov_b64_e32 v[28:29], 0
	s_delay_alu instid0(VALU_DEP_2)
	v_cmp_eq_u32_e64 s0, s0, v32
	s_and_saveexec_b32 s1, s0
	s_cbranch_execz .LBB6_736
; %bb.731:                              ;   in Loop: Header=BB6_674 Depth=1
	global_load_b64 v[26:27], v5, s[2:3] offset:24 scope:SCOPE_SYS
	s_wait_loadcnt 0x0
	global_inv scope:SCOPE_SYS
	s_clause 0x1
	global_load_b64 v[24:25], v5, s[2:3] offset:40
	global_load_b64 v[28:29], v5, s[2:3]
	s_mov_b32 s10, exec_lo
	s_wait_loadcnt 0x1
	v_and_b32_e32 v24, v24, v26
	v_and_b32_e32 v25, v25, v27
	s_delay_alu instid0(VALU_DEP_1) | instskip(SKIP_1) | instid1(VALU_DEP_1)
	v_mul_u64_e32 v[24:25], 24, v[24:25]
	s_wait_loadcnt 0x0
	v_add_nc_u64_e32 v[24:25], v[28:29], v[24:25]
	global_load_b64 v[24:25], v[24:25], off scope:SCOPE_SYS
	s_wait_xcnt 0x0
	s_wait_loadcnt 0x0
	global_atomic_cmpswap_b64 v[28:29], v5, v[24:27], s[2:3] offset:24 th:TH_ATOMIC_RETURN scope:SCOPE_SYS
	s_wait_loadcnt 0x0
	global_inv scope:SCOPE_SYS
	s_wait_xcnt 0x0
	v_cmpx_ne_u64_e64 v[28:29], v[26:27]
	s_cbranch_execz .LBB6_735
; %bb.732:                              ;   in Loop: Header=BB6_674 Depth=1
	s_mov_b32 s11, 0
.LBB6_733:                              ;   Parent Loop BB6_674 Depth=1
                                        ; =>  This Inner Loop Header: Depth=2
	s_sleep 1
	s_clause 0x1
	global_load_b64 v[24:25], v5, s[2:3] offset:40
	global_load_b64 v[30:31], v5, s[2:3]
	v_mov_b64_e32 v[26:27], v[28:29]
	s_wait_loadcnt 0x1
	s_delay_alu instid0(VALU_DEP_1) | instskip(SKIP_1) | instid1(VALU_DEP_1)
	v_and_b32_e32 v1, v24, v26
	s_wait_loadcnt 0x0
	v_mad_nc_u64_u32 v[28:29], v1, 24, v[30:31]
	s_delay_alu instid0(VALU_DEP_3) | instskip(NEXT) | instid1(VALU_DEP_1)
	v_and_b32_e32 v1, v25, v27
	v_mad_u32 v29, v1, 24, v29
	global_load_b64 v[24:25], v[28:29], off scope:SCOPE_SYS
	s_wait_xcnt 0x0
	s_wait_loadcnt 0x0
	global_atomic_cmpswap_b64 v[28:29], v5, v[24:27], s[2:3] offset:24 th:TH_ATOMIC_RETURN scope:SCOPE_SYS
	s_wait_loadcnt 0x0
	global_inv scope:SCOPE_SYS
	v_cmp_eq_u64_e32 vcc_lo, v[28:29], v[26:27]
	s_or_b32 s11, vcc_lo, s11
	s_wait_xcnt 0x0
	s_and_not1_b32 exec_lo, exec_lo, s11
	s_cbranch_execnz .LBB6_733
; %bb.734:                              ;   in Loop: Header=BB6_674 Depth=1
	s_or_b32 exec_lo, exec_lo, s11
.LBB6_735:                              ;   in Loop: Header=BB6_674 Depth=1
	s_delay_alu instid0(SALU_CYCLE_1)
	s_or_b32 exec_lo, exec_lo, s10
.LBB6_736:                              ;   in Loop: Header=BB6_674 Depth=1
	s_delay_alu instid0(SALU_CYCLE_1)
	s_or_b32 exec_lo, exec_lo, s1
	s_clause 0x1
	global_load_b64 v[30:31], v5, s[2:3] offset:40
	global_load_b128 v[24:27], v5, s[2:3]
	v_readfirstlane_b32 s10, v28
	v_readfirstlane_b32 s11, v29
	s_mov_b32 s1, exec_lo
	s_wait_loadcnt 0x1
	v_and_b32_e32 v30, s10, v30
	v_and_b32_e32 v31, s11, v31
	s_delay_alu instid0(VALU_DEP_1) | instskip(SKIP_1) | instid1(VALU_DEP_1)
	v_mul_u64_e32 v[28:29], 24, v[30:31]
	s_wait_loadcnt 0x0
	v_add_nc_u64_e32 v[28:29], v[24:25], v[28:29]
	s_wait_xcnt 0x0
	s_and_saveexec_b32 s12, s0
	s_cbranch_execz .LBB6_738
; %bb.737:                              ;   in Loop: Header=BB6_674 Depth=1
	v_mov_b32_e32 v4, s1
	global_store_b128 v[28:29], v[4:7], off offset:8
.LBB6_738:                              ;   in Loop: Header=BB6_674 Depth=1
	s_wait_xcnt 0x0
	s_or_b32 exec_lo, exec_lo, s12
	v_cmp_gt_u64_e64 s1, s[6:7], 56
	v_lshlrev_b64_e32 v[30:31], 12, v[30:31]
	v_and_b32_e32 v1, 0xffffff1f, v8
	s_and_b32 s1, s1, exec_lo
	s_delay_alu instid0(VALU_DEP_2) | instskip(SKIP_4) | instid1(VALU_DEP_2)
	v_add_nc_u64_e32 v[26:27], v[26:27], v[30:31]
	s_cselect_b32 s1, 0, 2
	s_lshl_b32 s12, s8, 2
	v_or_b32_e32 v1, s1, v1
	s_add_co_i32 s1, s12, 28
	v_readfirstlane_b32 s12, v26
	s_delay_alu instid0(VALU_DEP_3) | instskip(NEXT) | instid1(VALU_DEP_3)
	v_readfirstlane_b32 s13, v27
	v_and_or_b32 v8, 0x1e0, s1, v1
	s_clause 0x3
	global_store_b128 v0, v[8:11], s[12:13]
	global_store_b128 v0, v[12:15], s[12:13] offset:16
	global_store_b128 v0, v[16:19], s[12:13] offset:32
	;; [unrolled: 1-line block ×3, first 2 shown]
	s_wait_xcnt 0x0
	s_and_saveexec_b32 s1, s0
	s_cbranch_execz .LBB6_746
; %bb.739:                              ;   in Loop: Header=BB6_674 Depth=1
	s_clause 0x1
	global_load_b64 v[16:17], v5, s[2:3] offset:32 scope:SCOPE_SYS
	global_load_b64 v[8:9], v5, s[2:3] offset:40
	s_mov_b32 s12, exec_lo
	v_dual_mov_b32 v14, s10 :: v_dual_mov_b32 v15, s11
	s_wait_loadcnt 0x0
	v_and_b32_e32 v9, s11, v9
	v_and_b32_e32 v8, s10, v8
	s_delay_alu instid0(VALU_DEP_1) | instskip(NEXT) | instid1(VALU_DEP_1)
	v_mul_u64_e32 v[8:9], 24, v[8:9]
	v_add_nc_u64_e32 v[12:13], v[24:25], v[8:9]
	global_store_b64 v[12:13], v[16:17], off
	global_wb scope:SCOPE_SYS
	s_wait_storecnt 0x0
	s_wait_xcnt 0x0
	global_atomic_cmpswap_b64 v[10:11], v5, v[14:17], s[2:3] offset:32 th:TH_ATOMIC_RETURN scope:SCOPE_SYS
	s_wait_loadcnt 0x0
	v_cmpx_ne_u64_e64 v[10:11], v[16:17]
	s_cbranch_execz .LBB6_742
; %bb.740:                              ;   in Loop: Header=BB6_674 Depth=1
	s_mov_b32 s13, 0
.LBB6_741:                              ;   Parent Loop BB6_674 Depth=1
                                        ; =>  This Inner Loop Header: Depth=2
	v_dual_mov_b32 v8, s10 :: v_dual_mov_b32 v9, s11
	s_sleep 1
	global_store_b64 v[12:13], v[10:11], off
	global_wb scope:SCOPE_SYS
	s_wait_storecnt 0x0
	s_wait_xcnt 0x0
	global_atomic_cmpswap_b64 v[8:9], v5, v[8:11], s[2:3] offset:32 th:TH_ATOMIC_RETURN scope:SCOPE_SYS
	s_wait_loadcnt 0x0
	v_cmp_eq_u64_e32 vcc_lo, v[8:9], v[10:11]
	v_mov_b64_e32 v[10:11], v[8:9]
	s_or_b32 s13, vcc_lo, s13
	s_delay_alu instid0(SALU_CYCLE_1)
	s_and_not1_b32 exec_lo, exec_lo, s13
	s_cbranch_execnz .LBB6_741
.LBB6_742:                              ;   in Loop: Header=BB6_674 Depth=1
	s_or_b32 exec_lo, exec_lo, s12
	global_load_b64 v[8:9], v5, s[2:3] offset:16
	s_mov_b32 s13, exec_lo
	s_mov_b32 s12, exec_lo
	v_mbcnt_lo_u32_b32 v1, s13, 0
	s_wait_xcnt 0x0
	s_delay_alu instid0(VALU_DEP_1)
	v_cmpx_eq_u32_e32 0, v1
	s_cbranch_execz .LBB6_744
; %bb.743:                              ;   in Loop: Header=BB6_674 Depth=1
	s_bcnt1_i32_b32 s13, s13
	s_delay_alu instid0(SALU_CYCLE_1)
	v_mov_b32_e32 v4, s13
	global_wb scope:SCOPE_SYS
	s_wait_loadcnt 0x0
	s_wait_storecnt 0x0
	global_atomic_add_u64 v[8:9], v[4:5], off offset:8 scope:SCOPE_SYS
.LBB6_744:                              ;   in Loop: Header=BB6_674 Depth=1
	s_wait_xcnt 0x0
	s_or_b32 exec_lo, exec_lo, s12
	s_wait_loadcnt 0x0
	global_load_b64 v[10:11], v[8:9], off offset:16
	s_wait_loadcnt 0x0
	v_cmp_eq_u64_e32 vcc_lo, 0, v[10:11]
	s_cbranch_vccnz .LBB6_746
; %bb.745:                              ;   in Loop: Header=BB6_674 Depth=1
	global_load_b32 v4, v[8:9], off offset:24
	s_wait_loadcnt 0x0
	v_readfirstlane_b32 s12, v4
	global_wb scope:SCOPE_SYS
	s_wait_storecnt 0x0
	s_wait_xcnt 0x0
	global_store_b64 v[10:11], v[4:5], off scope:SCOPE_SYS
	s_and_b32 m0, s12, 0xffffff
	s_sendmsg sendmsg(MSG_INTERRUPT)
.LBB6_746:                              ;   in Loop: Header=BB6_674 Depth=1
	s_wait_xcnt 0x0
	s_or_b32 exec_lo, exec_lo, s1
	v_mov_b32_e32 v1, v5
	s_delay_alu instid0(VALU_DEP_1)
	v_add_nc_u64_e32 v[8:9], v[26:27], v[0:1]
	s_branch .LBB6_750
.LBB6_747:                              ;   in Loop: Header=BB6_750 Depth=2
	s_wait_xcnt 0x0
	s_or_b32 exec_lo, exec_lo, s1
	s_delay_alu instid0(VALU_DEP_1)
	v_readfirstlane_b32 s1, v1
	s_cmp_eq_u32 s1, 0
	s_cbranch_scc1 .LBB6_749
; %bb.748:                              ;   in Loop: Header=BB6_750 Depth=2
	s_sleep 1
	s_cbranch_execnz .LBB6_750
	s_branch .LBB6_752
.LBB6_749:                              ;   in Loop: Header=BB6_674 Depth=1
	s_branch .LBB6_752
.LBB6_750:                              ;   Parent Loop BB6_674 Depth=1
                                        ; =>  This Inner Loop Header: Depth=2
	v_mov_b32_e32 v1, 1
	s_and_saveexec_b32 s1, s0
	s_cbranch_execz .LBB6_747
; %bb.751:                              ;   in Loop: Header=BB6_750 Depth=2
	global_load_b32 v1, v[28:29], off offset:20 scope:SCOPE_SYS
	s_wait_loadcnt 0x0
	global_inv scope:SCOPE_SYS
	v_and_b32_e32 v1, 1, v1
	s_branch .LBB6_747
.LBB6_752:                              ;   in Loop: Header=BB6_674 Depth=1
	global_load_b128 v[8:11], v[8:9], off
	s_wait_xcnt 0x0
	s_and_saveexec_b32 s12, s0
	s_cbranch_execz .LBB6_673
; %bb.753:                              ;   in Loop: Header=BB6_674 Depth=1
	s_wait_loadcnt 0x0
	s_clause 0x2
	global_load_b64 v[10:11], v5, s[2:3] offset:40
	global_load_b64 v[18:19], v5, s[2:3] offset:24 scope:SCOPE_SYS
	global_load_b64 v[12:13], v5, s[2:3]
	s_wait_loadcnt 0x2
	v_readfirstlane_b32 s14, v10
	v_readfirstlane_b32 s15, v11
	s_add_nc_u64 s[0:1], s[14:15], 1
	s_delay_alu instid0(SALU_CYCLE_1) | instskip(NEXT) | instid1(SALU_CYCLE_1)
	s_add_nc_u64 s[10:11], s[0:1], s[10:11]
	s_cmp_eq_u64 s[10:11], 0
	s_cselect_b32 s1, s1, s11
	s_cselect_b32 s0, s0, s10
	s_delay_alu instid0(SALU_CYCLE_1) | instskip(SKIP_1) | instid1(SALU_CYCLE_1)
	v_dual_mov_b32 v17, s1 :: v_dual_mov_b32 v16, s0
	s_and_b64 s[10:11], s[0:1], s[14:15]
	s_mul_u64 s[10:11], s[10:11], 24
	s_wait_loadcnt 0x0
	v_add_nc_u64_e32 v[14:15], s[10:11], v[12:13]
	global_store_b64 v[14:15], v[18:19], off
	global_wb scope:SCOPE_SYS
	s_wait_storecnt 0x0
	s_wait_xcnt 0x0
	global_atomic_cmpswap_b64 v[12:13], v5, v[16:19], s[2:3] offset:24 th:TH_ATOMIC_RETURN scope:SCOPE_SYS
	s_wait_loadcnt 0x0
	v_cmp_ne_u64_e32 vcc_lo, v[12:13], v[18:19]
	s_and_b32 exec_lo, exec_lo, vcc_lo
	s_cbranch_execz .LBB6_673
; %bb.754:                              ;   in Loop: Header=BB6_674 Depth=1
	s_mov_b32 s10, 0
.LBB6_755:                              ;   Parent Loop BB6_674 Depth=1
                                        ; =>  This Inner Loop Header: Depth=2
	v_dual_mov_b32 v10, s0 :: v_dual_mov_b32 v11, s1
	s_sleep 1
	global_store_b64 v[14:15], v[12:13], off
	global_wb scope:SCOPE_SYS
	s_wait_storecnt 0x0
	s_wait_xcnt 0x0
	global_atomic_cmpswap_b64 v[10:11], v5, v[10:13], s[2:3] offset:24 th:TH_ATOMIC_RETURN scope:SCOPE_SYS
	s_wait_loadcnt 0x0
	v_cmp_eq_u64_e32 vcc_lo, v[10:11], v[12:13]
	v_mov_b64_e32 v[12:13], v[10:11]
	s_or_b32 s10, vcc_lo, s10
	s_delay_alu instid0(SALU_CYCLE_1)
	s_and_not1_b32 exec_lo, exec_lo, s10
	s_cbranch_execnz .LBB6_755
	s_branch .LBB6_673
.LBB6_756:
	s_mov_b32 s0, 0
	s_branch .LBB6_758
.LBB6_757:
	s_mov_b32 s0, -1
.LBB6_758:
	s_delay_alu instid0(SALU_CYCLE_1)
	s_and_b32 vcc_lo, exec_lo, s0
	s_cbranch_vccz .LBB6_786
; %bb.759:
	v_readfirstlane_b32 s0, v32
	s_wait_loadcnt 0x0
	v_mov_b64_e32 v[10:11], 0
	s_delay_alu instid0(VALU_DEP_2)
	v_cmp_eq_u32_e64 s0, s0, v32
	s_and_saveexec_b32 s1, s0
	s_cbranch_execz .LBB6_765
; %bb.760:
	v_mov_b32_e32 v1, 0
	s_mov_b32 s4, exec_lo
	global_load_b64 v[6:7], v1, s[2:3] offset:24 scope:SCOPE_SYS
	s_wait_loadcnt 0x0
	global_inv scope:SCOPE_SYS
	s_clause 0x1
	global_load_b64 v[4:5], v1, s[2:3] offset:40
	global_load_b64 v[8:9], v1, s[2:3]
	s_wait_loadcnt 0x1
	v_and_b32_e32 v4, v4, v6
	v_and_b32_e32 v5, v5, v7
	s_delay_alu instid0(VALU_DEP_1) | instskip(SKIP_1) | instid1(VALU_DEP_1)
	v_mul_u64_e32 v[4:5], 24, v[4:5]
	s_wait_loadcnt 0x0
	v_add_nc_u64_e32 v[4:5], v[8:9], v[4:5]
	global_load_b64 v[4:5], v[4:5], off scope:SCOPE_SYS
	s_wait_xcnt 0x0
	s_wait_loadcnt 0x0
	global_atomic_cmpswap_b64 v[10:11], v1, v[4:7], s[2:3] offset:24 th:TH_ATOMIC_RETURN scope:SCOPE_SYS
	s_wait_loadcnt 0x0
	global_inv scope:SCOPE_SYS
	s_wait_xcnt 0x0
	v_cmpx_ne_u64_e64 v[10:11], v[6:7]
	s_cbranch_execz .LBB6_764
; %bb.761:
	s_mov_b32 s5, 0
.LBB6_762:                              ; =>This Inner Loop Header: Depth=1
	s_sleep 1
	s_clause 0x1
	global_load_b64 v[4:5], v1, s[2:3] offset:40
	global_load_b64 v[8:9], v1, s[2:3]
	v_mov_b64_e32 v[6:7], v[10:11]
	s_wait_loadcnt 0x1
	s_delay_alu instid0(VALU_DEP_1) | instskip(SKIP_1) | instid1(VALU_DEP_1)
	v_and_b32_e32 v4, v4, v6
	s_wait_loadcnt 0x0
	v_mad_nc_u64_u32 v[8:9], v4, 24, v[8:9]
	s_delay_alu instid0(VALU_DEP_3) | instskip(NEXT) | instid1(VALU_DEP_1)
	v_and_b32_e32 v4, v5, v7
	v_mad_u32 v9, v4, 24, v9
	global_load_b64 v[4:5], v[8:9], off scope:SCOPE_SYS
	s_wait_xcnt 0x0
	s_wait_loadcnt 0x0
	global_atomic_cmpswap_b64 v[10:11], v1, v[4:7], s[2:3] offset:24 th:TH_ATOMIC_RETURN scope:SCOPE_SYS
	s_wait_loadcnt 0x0
	global_inv scope:SCOPE_SYS
	v_cmp_eq_u64_e32 vcc_lo, v[10:11], v[6:7]
	s_or_b32 s5, vcc_lo, s5
	s_wait_xcnt 0x0
	s_and_not1_b32 exec_lo, exec_lo, s5
	s_cbranch_execnz .LBB6_762
; %bb.763:
	s_or_b32 exec_lo, exec_lo, s5
	s_mov_b32 s29, 0
.LBB6_764:
	s_or_b32 exec_lo, exec_lo, s4
.LBB6_765:
	s_delay_alu instid0(SALU_CYCLE_1)
	s_or_b32 exec_lo, exec_lo, s1
	v_readfirstlane_b32 s4, v10
	v_mov_b32_e32 v4, 0
	v_readfirstlane_b32 s5, v11
	s_mov_b32 s1, exec_lo
	s_clause 0x1
	global_load_b64 v[12:13], v4, s[2:3] offset:40
	global_load_b128 v[6:9], v4, s[2:3]
	s_wait_loadcnt 0x1
	v_and_b32_e32 v12, s4, v12
	v_and_b32_e32 v13, s5, v13
	s_delay_alu instid0(VALU_DEP_1) | instskip(SKIP_1) | instid1(VALU_DEP_1)
	v_mul_u64_e32 v[10:11], 24, v[12:13]
	s_wait_loadcnt 0x0
	v_add_nc_u64_e32 v[10:11], v[6:7], v[10:11]
	s_wait_xcnt 0x0
	s_and_saveexec_b32 s6, s0
	s_cbranch_execz .LBB6_767
; %bb.766:
	v_mov_b64_e32 v[16:17], 0x100000002
	v_dual_mov_b32 v14, s1 :: v_dual_mov_b32 v15, v4
	global_store_b128 v[10:11], v[14:17], off offset:8
.LBB6_767:
	s_wait_xcnt 0x0
	s_or_b32 exec_lo, exec_lo, s6
	v_lshlrev_b64_e32 v[12:13], 12, v[12:13]
	s_mov_b32 s8, 0
	v_and_or_b32 v2, 0xffffff1d, v2, 34
	s_mov_b32 s10, s8
	s_mov_b32 s11, s8
	;; [unrolled: 1-line block ×3, first 2 shown]
	v_mov_b32_e32 v5, v4
	v_add_nc_u64_e32 v[8:9], v[8:9], v[12:13]
	v_mov_b64_e32 v[14:15], s[10:11]
	v_mov_b64_e32 v[12:13], s[8:9]
	s_delay_alu instid0(VALU_DEP_3) | instskip(NEXT) | instid1(VALU_DEP_4)
	v_readfirstlane_b32 s6, v8
	v_readfirstlane_b32 s7, v9
	s_clause 0x3
	global_store_b128 v0, v[2:5], s[6:7]
	global_store_b128 v0, v[12:15], s[6:7] offset:16
	global_store_b128 v0, v[12:15], s[6:7] offset:32
	;; [unrolled: 1-line block ×3, first 2 shown]
	s_wait_xcnt 0x0
	s_and_saveexec_b32 s1, s0
	s_cbranch_execz .LBB6_775
; %bb.768:
	v_dual_mov_b32 v8, 0 :: v_dual_mov_b32 v13, s5
	s_mov_b32 s6, exec_lo
	s_clause 0x1
	global_load_b64 v[14:15], v8, s[2:3] offset:32 scope:SCOPE_SYS
	global_load_b64 v[0:1], v8, s[2:3] offset:40
	s_wait_loadcnt 0x0
	v_dual_mov_b32 v12, s4 :: v_dual_bitop2_b32 v1, s5, v1 bitop3:0x40
	v_and_b32_e32 v0, s4, v0
	s_delay_alu instid0(VALU_DEP_1) | instskip(NEXT) | instid1(VALU_DEP_1)
	v_mul_u64_e32 v[0:1], 24, v[0:1]
	v_add_nc_u64_e32 v[4:5], v[6:7], v[0:1]
	global_store_b64 v[4:5], v[14:15], off
	global_wb scope:SCOPE_SYS
	s_wait_storecnt 0x0
	s_wait_xcnt 0x0
	global_atomic_cmpswap_b64 v[2:3], v8, v[12:15], s[2:3] offset:32 th:TH_ATOMIC_RETURN scope:SCOPE_SYS
	s_wait_loadcnt 0x0
	v_cmpx_ne_u64_e64 v[2:3], v[14:15]
	s_cbranch_execz .LBB6_771
; %bb.769:
	s_mov_b32 s7, 0
.LBB6_770:                              ; =>This Inner Loop Header: Depth=1
	v_dual_mov_b32 v0, s4 :: v_dual_mov_b32 v1, s5
	s_sleep 1
	global_store_b64 v[4:5], v[2:3], off
	global_wb scope:SCOPE_SYS
	s_wait_storecnt 0x0
	s_wait_xcnt 0x0
	global_atomic_cmpswap_b64 v[0:1], v8, v[0:3], s[2:3] offset:32 th:TH_ATOMIC_RETURN scope:SCOPE_SYS
	s_wait_loadcnt 0x0
	v_cmp_eq_u64_e32 vcc_lo, v[0:1], v[2:3]
	v_mov_b64_e32 v[2:3], v[0:1]
	s_or_b32 s7, vcc_lo, s7
	s_delay_alu instid0(SALU_CYCLE_1)
	s_and_not1_b32 exec_lo, exec_lo, s7
	s_cbranch_execnz .LBB6_770
.LBB6_771:
	s_or_b32 exec_lo, exec_lo, s6
	v_mov_b32_e32 v3, 0
	s_mov_b32 s7, exec_lo
	s_mov_b32 s6, exec_lo
	v_mbcnt_lo_u32_b32 v2, s7, 0
	global_load_b64 v[0:1], v3, s[2:3] offset:16
	s_wait_xcnt 0x0
	v_cmpx_eq_u32_e32 0, v2
	s_cbranch_execz .LBB6_773
; %bb.772:
	s_bcnt1_i32_b32 s7, s7
	s_delay_alu instid0(SALU_CYCLE_1)
	v_mov_b32_e32 v2, s7
	global_wb scope:SCOPE_SYS
	s_wait_loadcnt 0x0
	s_wait_storecnt 0x0
	global_atomic_add_u64 v[0:1], v[2:3], off offset:8 scope:SCOPE_SYS
.LBB6_773:
	s_wait_xcnt 0x0
	s_or_b32 exec_lo, exec_lo, s6
	s_wait_loadcnt 0x0
	global_load_b64 v[2:3], v[0:1], off offset:16
	s_mov_b32 s29, 0
	s_wait_loadcnt 0x0
	v_cmp_eq_u64_e32 vcc_lo, 0, v[2:3]
	s_cbranch_vccnz .LBB6_775
; %bb.774:
	global_load_b32 v0, v[0:1], off offset:24
	s_wait_xcnt 0x0
	v_mov_b32_e32 v1, 0
	s_wait_loadcnt 0x0
	v_readfirstlane_b32 s6, v0
	global_wb scope:SCOPE_SYS
	s_wait_storecnt 0x0
	global_store_b64 v[2:3], v[0:1], off scope:SCOPE_SYS
	s_and_b32 m0, s6, 0xffffff
	s_sendmsg sendmsg(MSG_INTERRUPT)
.LBB6_775:
	s_wait_xcnt 0x0
	s_or_b32 exec_lo, exec_lo, s1
	s_branch .LBB6_779
.LBB6_776:                              ;   in Loop: Header=BB6_779 Depth=1
	s_wait_xcnt 0x0
	s_or_b32 exec_lo, exec_lo, s1
	s_delay_alu instid0(VALU_DEP_1)
	v_readfirstlane_b32 s1, v0
	s_cmp_eq_u32 s1, 0
	s_cbranch_scc1 .LBB6_778
; %bb.777:                              ;   in Loop: Header=BB6_779 Depth=1
	s_sleep 1
	s_cbranch_execnz .LBB6_779
	s_branch .LBB6_781
.LBB6_778:
	s_branch .LBB6_781
.LBB6_779:                              ; =>This Inner Loop Header: Depth=1
	v_mov_b32_e32 v0, 1
	s_and_saveexec_b32 s1, s0
	s_cbranch_execz .LBB6_776
; %bb.780:                              ;   in Loop: Header=BB6_779 Depth=1
	global_load_b32 v0, v[10:11], off offset:20 scope:SCOPE_SYS
	s_wait_loadcnt 0x0
	global_inv scope:SCOPE_SYS
	v_and_b32_e32 v0, 1, v0
	s_branch .LBB6_776
.LBB6_781:
	s_and_saveexec_b32 s6, s0
	s_cbranch_execz .LBB6_785
; %bb.782:
	v_mov_b32_e32 v6, 0
	s_clause 0x2
	global_load_b64 v[0:1], v6, s[2:3] offset:40
	global_load_b64 v[10:11], v6, s[2:3] offset:24 scope:SCOPE_SYS
	global_load_b64 v[2:3], v6, s[2:3]
	s_wait_loadcnt 0x2
	v_readfirstlane_b32 s8, v0
	v_readfirstlane_b32 s9, v1
	s_add_nc_u64 s[0:1], s[8:9], 1
	s_delay_alu instid0(SALU_CYCLE_1) | instskip(NEXT) | instid1(SALU_CYCLE_1)
	s_add_nc_u64 s[4:5], s[0:1], s[4:5]
	s_cmp_eq_u64 s[4:5], 0
	s_cselect_b32 s1, s1, s5
	s_cselect_b32 s0, s0, s4
	v_mov_b32_e32 v9, s1
	s_and_b64 s[4:5], s[0:1], s[8:9]
	v_mov_b32_e32 v8, s0
	s_mul_u64 s[4:5], s[4:5], 24
	s_wait_loadcnt 0x0
	v_add_nc_u64_e32 v[4:5], s[4:5], v[2:3]
	global_store_b64 v[4:5], v[10:11], off
	global_wb scope:SCOPE_SYS
	s_wait_storecnt 0x0
	s_wait_xcnt 0x0
	global_atomic_cmpswap_b64 v[2:3], v6, v[8:11], s[2:3] offset:24 th:TH_ATOMIC_RETURN scope:SCOPE_SYS
	s_wait_loadcnt 0x0
	v_cmp_ne_u64_e32 vcc_lo, v[2:3], v[10:11]
	s_and_b32 exec_lo, exec_lo, vcc_lo
	s_cbranch_execz .LBB6_785
; %bb.783:
	s_mov_b32 s4, 0
.LBB6_784:                              ; =>This Inner Loop Header: Depth=1
	v_dual_mov_b32 v0, s0 :: v_dual_mov_b32 v1, s1
	s_sleep 1
	global_store_b64 v[4:5], v[2:3], off
	global_wb scope:SCOPE_SYS
	s_wait_storecnt 0x0
	s_wait_xcnt 0x0
	global_atomic_cmpswap_b64 v[0:1], v6, v[0:3], s[2:3] offset:24 th:TH_ATOMIC_RETURN scope:SCOPE_SYS
	s_wait_loadcnt 0x0
	v_cmp_eq_u64_e32 vcc_lo, v[0:1], v[2:3]
	v_mov_b64_e32 v[2:3], v[0:1]
	s_or_b32 s4, vcc_lo, s4
	s_delay_alu instid0(SALU_CYCLE_1)
	s_and_not1_b32 exec_lo, exec_lo, s4
	s_cbranch_execnz .LBB6_784
.LBB6_785:
	s_or_b32 exec_lo, exec_lo, s6
.LBB6_786:
	s_get_pc_i64 s[0:1]
	s_add_nc_u64 s[0:1], s[0:1], .str.29@rel64+4
	s_get_pc_i64 s[2:3]
	s_add_nc_u64 s[2:3], s[2:3], .str.19@rel64+4
	s_get_pc_i64 s[4:5]
	s_add_nc_u64 s[4:5], s[4:5], __PRETTY_FUNCTION__._ZN7VecsMemIjLi8192EE5fetchEi@rel64+4
	v_dual_mov_b32 v0, s0 :: v_dual_mov_b32 v1, s1
	s_wait_loadcnt 0x0
	v_dual_mov_b32 v2, s2 :: v_dual_mov_b32 v3, s3
	v_dual_mov_b32 v4, 12 :: v_dual_mov_b32 v5, s4
	v_mov_b32_e32 v6, s5
	s_get_pc_i64 s[6:7]
	s_add_nc_u64 s[6:7], s[6:7], __assert_fail@rel64+4
	s_mov_b64 s[8:9], s[52:53]
	s_swap_pc_i64 s[30:31], s[6:7]
	s_or_b32 s0, s17, exec_lo
.LBB6_787:
	s_or_b32 exec_lo, exec_lo, s23
	s_delay_alu instid0(SALU_CYCLE_1) | instskip(SKIP_1) | instid1(SALU_CYCLE_1)
	s_and_not1_b32 s1, s17, exec_lo
	s_and_b32 s0, s0, exec_lo
	s_or_b32 s23, s1, s0
	s_or_not1_b32 s0, s44, exec_lo
.LBB6_788:
	s_or_b32 exec_lo, exec_lo, s24
	s_mov_b32 s1, 0
                                        ; implicit-def: $vgpr44
	s_and_saveexec_b32 s44, s0
	s_cbranch_execz .LBB6_1856
; %bb.789:
	v_mov_b32_e32 v0, 0
	s_mov_b32 s0, exec_lo
	scratch_store_b64 off, v[70:71], s33 offset:168
	s_wait_xcnt 0x0
	v_cmpx_lt_i32_e32 0, v58
	s_cbranch_execz .LBB6_797
; %bb.790:
	v_mov_b64_e32 v[2:3], v[66:67]
	v_dual_mov_b32 v4, 0 :: v_dual_mov_b32 v0, 0
	s_mov_b32 s2, 0
	s_branch .LBB6_792
.LBB6_791:                              ;   in Loop: Header=BB6_792 Depth=1
	s_wait_xcnt 0x0
	s_or_b32 exec_lo, exec_lo, s3
	flat_load_b32 v1, v[64:65] offset:4
	s_add_co_i32 s2, s2, 1
	v_add_nc_u64_e32 v[2:3], 4, v[2:3]
	s_wait_loadcnt_dscnt 0x0
	v_cmp_ge_i32_e32 vcc_lo, s2, v1
	s_or_b32 s1, vcc_lo, s1
	s_wait_xcnt 0x0
	s_and_not1_b32 exec_lo, exec_lo, s1
	s_cbranch_execz .LBB6_796
.LBB6_792:                              ; =>This Inner Loop Header: Depth=1
	flat_load_b32 v5, v[2:3]
	s_mov_b32 s3, exec_lo
	s_wait_loadcnt_dscnt 0x0
	v_cmpx_gt_i32_e32 0, v5
	s_xor_b32 s3, exec_lo, s3
	s_cbranch_execz .LBB6_794
; %bb.793:                              ;   in Loop: Header=BB6_792 Depth=1
	v_and_b32_e32 v1, 0x7fffffff, v5
                                        ; implicit-def: $vgpr5
	flat_store_b32 v[2:3], v1
.LBB6_794:                              ;   in Loop: Header=BB6_792 Depth=1
	s_wait_xcnt 0x0
	s_and_not1_saveexec_b32 s3, s3
	s_cbranch_execz .LBB6_791
; %bb.795:                              ;   in Loop: Header=BB6_792 Depth=1
	v_dual_ashrrev_i32 v1, 31, v0 :: v_dual_add_nc_u32 v4, 1, v0
	s_delay_alu instid0(VALU_DEP_1) | instskip(NEXT) | instid1(VALU_DEP_2)
	v_lshl_add_u64 v[6:7], v[0:1], 2, v[70:71]
	v_mov_b32_e32 v0, v4
	flat_store_b32 v[6:7], v5
	s_branch .LBB6_791
.LBB6_796:
	s_or_b32 exec_lo, exec_lo, s1
	scratch_store_b32 off, v4, s33 offset:164
.LBB6_797:
	s_wait_xcnt 0x0
	s_or_b32 exec_lo, exec_lo, s0
	s_mov_b32 s24, s23
	s_mov_b32 s0, exec_lo
	v_cmpx_ne_u32_e64 v68, v0
	s_xor_b32 s45, exec_lo, s0
	s_cbranch_execz .LBB6_799
; %bb.798:
	s_get_pc_i64 s[0:1]
	s_add_nc_u64 s[0:1], s[0:1], .str.40@rel64+4
	s_get_pc_i64 s[2:3]
	s_add_nc_u64 s[2:3], s[2:3], .str.31@rel64+4
	s_get_pc_i64 s[4:5]
	s_add_nc_u64 s[4:5], s[4:5], __PRETTY_FUNCTION__._ZN3sop17sopDivideInternalEPNS_3SopES1_S1_S1_P7VecsMemIjLi8192EE@rel64+4
	v_dual_mov_b32 v0, s0 :: v_dual_mov_b32 v1, s1
	v_dual_mov_b32 v2, s2 :: v_dual_mov_b32 v3, s3
	;; [unrolled: 1-line block ×3, first 2 shown]
	v_mov_b32_e32 v6, s5
	s_get_pc_i64 s[6:7]
	s_add_nc_u64 s[6:7], s[6:7], __assert_fail@rel64+4
	s_mov_b64 s[8:9], s[52:53]
	s_swap_pc_i64 s[30:31], s[6:7]
	s_or_b32 s24, s23, exec_lo
                                        ; implicit-def: $vgpr60_vgpr61
                                        ; implicit-def: $vgpr42_vgpr43
                                        ; implicit-def: $vgpr41
                                        ; implicit-def: $vgpr56
                                        ; implicit-def: $vgpr80_vgpr81
                                        ; implicit-def: $vgpr64_vgpr65
                                        ; implicit-def: $vgpr66_vgpr67
.LBB6_799:
	s_or_saveexec_b32 s45, s45
	s_mov_b32 s0, 0
                                        ; implicit-def: $vgpr44
	s_xor_b32 exec_lo, exec_lo, s45
	s_cbranch_execz .LBB6_1855
; %bb.800:
	s_mov_b32 s1, s24
	s_mov_b32 s0, exec_lo
	v_cmpx_gt_i32_e32 1, v82
	s_xor_b32 s46, exec_lo, s0
	s_cbranch_execz .LBB6_802
; %bb.801:
	s_get_pc_i64 s[0:1]
	s_add_nc_u64 s[0:1], s[0:1], .str.33@rel64+4
	s_get_pc_i64 s[2:3]
	s_add_nc_u64 s[2:3], s[2:3], .str.31@rel64+4
	s_get_pc_i64 s[4:5]
	s_add_nc_u64 s[4:5], s[4:5], __PRETTY_FUNCTION__._ZN3sop18sopCommonCubeCoverEPNS_3SopES1_P7VecsMemIjLi8192EE@rel64+4
	v_dual_mov_b32 v0, s0 :: v_dual_mov_b32 v1, s1
	v_dual_mov_b32 v2, s2 :: v_dual_mov_b32 v3, s3
	;; [unrolled: 1-line block ×3, first 2 shown]
	v_mov_b32_e32 v6, s5
	s_get_pc_i64 s[6:7]
	s_add_nc_u64 s[6:7], s[6:7], __assert_fail@rel64+4
	s_mov_b64 s[8:9], s[52:53]
	s_swap_pc_i64 s[30:31], s[6:7]
	s_or_b32 s1, s24, exec_lo
                                        ; implicit-def: $vgpr60_vgpr61
                                        ; implicit-def: $vgpr42_vgpr43
                                        ; implicit-def: $vgpr41
                                        ; implicit-def: $vgpr56
                                        ; implicit-def: $vgpr80_vgpr81
                                        ; implicit-def: $vgpr64_vgpr65
                                        ; implicit-def: $vgpr66_vgpr67
.LBB6_802:
	s_or_saveexec_b32 s2, s46
	s_mov_b32 s0, 0
                                        ; implicit-def: $vgpr44
	s_xor_b32 exec_lo, exec_lo, s2
	s_cbranch_execz .LBB6_1854
; %bb.803:
	v_cmp_ne_u32_e32 vcc_lo, 1, v82
	v_dual_mov_b32 v0, 0 :: v_dual_mov_b32 v2, -1
	s_mov_b32 s0, -1
	s_and_saveexec_b32 s3, vcc_lo
	s_cbranch_execz .LBB6_807
; %bb.804:
	v_and_b32_e32 v0, 0x7ffffffe, v82
	v_mov_b64_e32 v[2:3], v[80:81]
	v_dual_mov_b32 v1, -1 :: v_dual_mov_b32 v4, -1
	s_mov_b32 s4, 0
	s_delay_alu instid0(VALU_DEP_3)
	v_mov_b32_e32 v5, v0
.LBB6_805:                              ; =>This Inner Loop Header: Depth=1
	flat_load_b64 v[6:7], v[2:3]
	v_add_nc_u32_e32 v5, -2, v5
	s_wait_xcnt 0x0
	v_add_nc_u64_e32 v[2:3], 8, v[2:3]
	s_wait_loadcnt_dscnt 0x0
	v_and_b32_e32 v4, v7, v4
	v_cmp_eq_u32_e64 s0, 0, v5
	v_and_b32_e32 v1, v6, v1
	s_or_b32 s4, s0, s4
	s_delay_alu instid0(SALU_CYCLE_1)
	s_and_not1_b32 exec_lo, exec_lo, s4
	s_cbranch_execnz .LBB6_805
; %bb.806:
	s_or_b32 exec_lo, exec_lo, s4
	v_cmp_ne_u32_e64 s0, v82, v0
	v_and_b32_e32 v2, v1, v4
	s_or_not1_b32 s0, s0, exec_lo
.LBB6_807:
	s_or_b32 exec_lo, exec_lo, s3
	s_and_saveexec_b32 s3, s0
	s_cbranch_execz .LBB6_811
; %bb.808:
	v_dual_mov_b32 v1, 0 :: v_dual_sub_nc_u32 v3, v82, v0
	s_mov_b32 s4, 0
	s_delay_alu instid0(VALU_DEP_1)
	v_lshl_add_u64 v[0:1], v[0:1], 2, v[80:81]
.LBB6_809:                              ; =>This Inner Loop Header: Depth=1
	flat_load_b32 v4, v[0:1]
	v_add_nc_u32_e32 v3, -1, v3
	s_wait_xcnt 0x0
	v_add_nc_u64_e32 v[0:1], 4, v[0:1]
	s_wait_loadcnt_dscnt 0x0
	v_and_b32_e32 v2, v4, v2
	v_cmp_eq_u32_e64 s0, 0, v3
	s_or_b32 s4, s0, s4
	s_delay_alu instid0(SALU_CYCLE_1)
	s_and_not1_b32 exec_lo, exec_lo, s4
	s_cbranch_execnz .LBB6_809
; %bb.810:
	s_or_b32 exec_lo, exec_lo, s4
.LBB6_811:
	s_delay_alu instid0(SALU_CYCLE_1)
	s_or_b32 exec_lo, exec_lo, s3
	v_cmp_ne_u32_e64 s0, 0, v2
	s_mov_b32 s38, 0
	s_mov_b32 s36, s1
                                        ; implicit-def: $vgpr44
	s_and_saveexec_b32 s3, s0
	v_writelane_b32 v73, s22, 8
	s_xor_b32 s0, exec_lo, s3
	v_writelane_b32 v73, s25, 6
	v_writelane_b32 v73, s19, 4
	;; [unrolled: 1-line block ×13, first 2 shown]
	s_cbranch_execz .LBB6_1643
; %bb.812:
	flat_load_b32 v0, v[60:61]
	v_writelane_b32 v73, s0, 19
	s_mov_b32 s17, 0
                                        ; implicit-def: $vgpr44
	v_writelane_b32 v73, s43, 18
	v_writelane_b32 v73, s27, 3
	;; [unrolled: 1-line block ×4, first 2 shown]
	s_mov_b32 s18, s1
	v_writelane_b32 v73, s20, 10
	v_writelane_b32 v73, s28, 20
	s_wait_loadcnt_dscnt 0x0
	v_cmp_gt_i32_e64 s0, 0x2000, v0
	s_wait_xcnt 0x0
	s_and_saveexec_b32 s1, s0
	s_delay_alu instid0(SALU_CYCLE_1)
	s_xor_b32 s0, exec_lo, s1
	s_cbranch_execz .LBB6_1499
; %bb.813:
	v_dual_mov_b32 v2, 0 :: v_dual_add_nc_u32 v1, 1, v0
	v_mov_b32_e32 v4, -1
	s_mov_b32 s1, -1
	v_writelane_b32 v73, s0, 21
	flat_store_b32 v[60:61], v1
	s_wait_xcnt 0x0
	s_and_saveexec_b32 s0, vcc_lo
	s_cbranch_execz .LBB6_817
; %bb.814:
	v_and_b32_e32 v2, 0x7ffffffe, v82
	v_mov_b64_e32 v[4:5], v[80:81]
	v_dual_mov_b32 v1, -1 :: v_dual_mov_b32 v3, -1
	s_mov_b32 s1, 0
	s_delay_alu instid0(VALU_DEP_3)
	v_mov_b32_e32 v6, v2
.LBB6_815:                              ; =>This Inner Loop Header: Depth=1
	flat_load_b64 v[8:9], v[4:5]
	v_add_nc_u32_e32 v6, -2, v6
	s_wait_xcnt 0x0
	v_add_nc_u64_e32 v[4:5], 8, v[4:5]
	s_wait_loadcnt_dscnt 0x0
	v_and_b32_e32 v3, v9, v3
	v_cmp_eq_u32_e32 vcc_lo, 0, v6
	v_and_b32_e32 v1, v8, v1
	s_or_b32 s1, vcc_lo, s1
	s_delay_alu instid0(SALU_CYCLE_1)
	s_and_not1_b32 exec_lo, exec_lo, s1
	s_cbranch_execnz .LBB6_815
; %bb.816:
	s_or_b32 exec_lo, exec_lo, s1
	v_cmp_ne_u32_e32 vcc_lo, v82, v2
	v_and_b32_e32 v4, v1, v3
	s_or_not1_b32 s1, vcc_lo, exec_lo
.LBB6_817:
	s_or_b32 exec_lo, exec_lo, s0
	s_and_saveexec_b32 s0, s1
	s_cbranch_execz .LBB6_821
; %bb.818:
	v_dual_mov_b32 v3, 0 :: v_dual_sub_nc_u32 v1, v82, v2
	s_mov_b32 s1, 0
	s_delay_alu instid0(VALU_DEP_1)
	v_lshl_add_u64 v[2:3], v[2:3], 2, v[80:81]
.LBB6_819:                              ; =>This Inner Loop Header: Depth=1
	flat_load_b32 v5, v[2:3]
	v_add_nc_u32_e32 v1, -1, v1
	s_wait_xcnt 0x0
	v_add_nc_u64_e32 v[2:3], 4, v[2:3]
	s_wait_loadcnt_dscnt 0x0
	v_and_b32_e32 v4, v5, v4
	v_cmp_eq_u32_e32 vcc_lo, 0, v1
	s_or_b32 s1, vcc_lo, s1
	s_delay_alu instid0(SALU_CYCLE_1)
	s_and_not1_b32 exec_lo, exec_lo, s1
	s_cbranch_execnz .LBB6_819
; %bb.820:
	s_or_b32 exec_lo, exec_lo, s1
.LBB6_821:
	s_delay_alu instid0(SALU_CYCLE_1) | instskip(SKIP_1) | instid1(VALU_DEP_1)
	s_or_b32 exec_lo, exec_lo, s0
	v_dual_mov_b32 v2, -1 :: v_dual_ashrrev_i32 v1, 31, v0
	v_lshl_add_u64 v[0:1], v[0:1], 2, v[60:61]
	flat_store_b32 v[0:1], v4 offset:4
	s_wait_xcnt 0x0
	s_mov_b32 s1, exec_lo
	v_readlane_b32 s0, v73, 20
	s_and_b32 s0, s1, s0
	s_delay_alu instid0(SALU_CYCLE_1)
	s_mov_b32 exec_lo, s0
	s_cbranch_execz .LBB6_837
; %bb.822:
	v_dual_mov_b32 v5, -1 :: v_dual_mov_b32 v1, 0
	v_mov_b32_e32 v6, -1
	s_mov_b32 s2, 0
	s_mov_b32 s3, 0
	s_branch .LBB6_826
.LBB6_823:                              ;   in Loop: Header=BB6_826 Depth=1
	s_or_b32 exec_lo, exec_lo, s5
.LBB6_824:                              ;   in Loop: Header=BB6_826 Depth=1
	s_delay_alu instid0(SALU_CYCLE_1) | instskip(SKIP_3) | instid1(SALU_CYCLE_1)
	s_or_b32 exec_lo, exec_lo, s0
	v_cmp_lt_u32_e32 vcc_lo, 1, v8
	v_cmp_lt_i32_e64 s0, v5, v8
	s_and_b32 vcc_lo, vcc_lo, s0
	v_cndmask_b32_e64 v6, v6, s3, vcc_lo
	v_cndmask_b32_e32 v5, v5, v8, vcc_lo
.LBB6_825:                              ;   in Loop: Header=BB6_826 Depth=1
	s_or_b32 exec_lo, exec_lo, s4
	s_add_co_i32 s3, s3, 1
	s_delay_alu instid0(SALU_CYCLE_1) | instskip(SKIP_1) | instid1(SALU_CYCLE_1)
	v_cmp_eq_u32_e32 vcc_lo, s3, v41
	s_or_b32 s2, vcc_lo, s2
	s_and_not1_b32 exec_lo, exec_lo, s2
	s_cbranch_execz .LBB6_836
.LBB6_826:                              ; =>This Loop Header: Depth=1
                                        ;     Child Loop BB6_830 Depth 2
                                        ;     Child Loop BB6_834 Depth 2
	v_lshrrev_b32_e32 v0, s3, v4
	s_mov_b32 s4, exec_lo
	s_delay_alu instid0(VALU_DEP_1) | instskip(NEXT) | instid1(VALU_DEP_1)
	v_and_b32_e32 v0, 1, v0
	v_cmpx_eq_u32_e32 1, v0
	s_cbranch_execz .LBB6_825
; %bb.827:                              ;   in Loop: Header=BB6_826 Depth=1
	flat_load_b32 v7, v[64:65] offset:4
	v_mov_b32_e32 v8, 0
	s_mov_b32 s0, exec_lo
	s_wait_loadcnt_dscnt 0x0
	v_cmpx_lt_i32_e32 0, v7
	s_cbranch_execz .LBB6_824
; %bb.828:                              ;   in Loop: Header=BB6_826 Depth=1
	v_dual_mov_b32 v0, 0 :: v_dual_mov_b32 v8, 0
	s_mov_b32 s6, -1
	s_mov_b32 s5, exec_lo
	v_cmpx_ne_u32_e32 1, v7
	s_cbranch_execz .LBB6_832
; %bb.829:                              ;   in Loop: Header=BB6_826 Depth=1
	v_and_b32_e32 v0, 0x7ffffffe, v7
	v_mov_b64_e32 v[2:3], v[66:67]
	v_dual_mov_b32 v8, 0 :: v_dual_mov_b32 v9, 0
	s_mov_b32 s7, s3
	s_delay_alu instid0(VALU_DEP_3)
	v_mov_b32_e32 v10, v0
	s_mov_b32 s6, 0
.LBB6_830:                              ;   Parent Loop BB6_826 Depth=1
                                        ; =>  This Inner Loop Header: Depth=2
	flat_load_b64 v[12:13], v[2:3]
	s_wait_xcnt 0x0
	v_add_nc_u64_e32 v[2:3], 8, v[2:3]
	s_wait_loadcnt_dscnt 0x0
	v_dual_lshrrev_b32 v11, s7, v13 :: v_dual_lshrrev_b32 v12, s3, v12
	s_delay_alu instid0(VALU_DEP_1) | instskip(NEXT) | instid1(VALU_DEP_2)
	v_dual_add_nc_u32 v10, -2, v10 :: v_dual_bitop2_b32 v11, 1, v11 bitop3:0x40
	v_and_b32_e32 v12, 1, v12
	s_delay_alu instid0(VALU_DEP_2) | instskip(NEXT) | instid1(VALU_DEP_2)
	v_cmp_eq_u32_e32 vcc_lo, 0, v10
	v_dual_add_nc_u32 v9, v11, v9 :: v_dual_add_nc_u32 v8, v12, v8
	s_or_b32 s6, vcc_lo, s6
	s_delay_alu instid0(SALU_CYCLE_1)
	s_and_not1_b32 exec_lo, exec_lo, s6
	s_cbranch_execnz .LBB6_830
; %bb.831:                              ;   in Loop: Header=BB6_826 Depth=1
	s_or_b32 exec_lo, exec_lo, s6
	v_cmp_ne_u32_e32 vcc_lo, v7, v0
	v_add_nc_u32_e32 v8, v8, v9
	s_or_not1_b32 s6, vcc_lo, exec_lo
.LBB6_832:                              ;   in Loop: Header=BB6_826 Depth=1
	s_or_b32 exec_lo, exec_lo, s5
	s_and_saveexec_b32 s5, s6
	s_cbranch_execz .LBB6_823
; %bb.833:                              ;   in Loop: Header=BB6_826 Depth=1
	v_sub_nc_u32_e32 v7, v7, v0
	v_lshl_add_u64 v[2:3], v[0:1], 2, v[66:67]
	s_mov_b32 s6, 0
.LBB6_834:                              ;   Parent Loop BB6_826 Depth=1
                                        ; =>  This Inner Loop Header: Depth=2
	flat_load_b32 v0, v[2:3]
	s_wait_xcnt 0x0
	v_add_nc_u64_e32 v[2:3], 4, v[2:3]
	s_wait_loadcnt_dscnt 0x0
	v_bfe_u32 v0, v0, s3, 1
	s_delay_alu instid0(VALU_DEP_1) | instskip(NEXT) | instid1(VALU_DEP_1)
	v_dual_add_nc_u32 v7, -1, v7 :: v_dual_add_nc_u32 v8, v0, v8
	v_cmp_eq_u32_e32 vcc_lo, 0, v7
	s_or_b32 s6, vcc_lo, s6
	s_delay_alu instid0(SALU_CYCLE_1)
	s_and_not1_b32 exec_lo, exec_lo, s6
	s_cbranch_execnz .LBB6_834
; %bb.835:                              ;   in Loop: Header=BB6_826 Depth=1
	s_or_b32 exec_lo, exec_lo, s6
	s_branch .LBB6_823
.LBB6_836:
	s_or_b32 exec_lo, exec_lo, s2
	v_cmp_lt_i32_e32 vcc_lo, -1, v5
	v_cndmask_b32_e32 v2, -1, v6, vcc_lo
.LBB6_837:
	s_or_b32 exec_lo, exec_lo, s1
	flat_load_b32 v0, v[60:61]
	v_readlane_b32 s18, v73, 0
	s_mov_b32 s17, 0
                                        ; implicit-def: $vgpr44
	s_mov_b32 s0, exec_lo
	s_wait_loadcnt_dscnt 0x0
	v_cmpx_gt_i32_e32 0x2000, v0
	s_xor_b32 s49, exec_lo, s0
	s_cbranch_execz .LBB6_1355
; %bb.838:
	v_dual_ashrrev_i32 v1, 31, v0 :: v_dual_add_nc_u32 v3, 1, v0
	v_lshlrev_b32_e64 v55, v2, 1
	v_mov_b64_e32 v[70:71], 0
	v_readlane_b32 s67, v73, 0
	s_delay_alu instid0(VALU_DEP_4)
	v_lshl_add_u64 v[68:69], v[0:1], 2, v[60:61]
	v_mov_b32_e32 v0, 0
	s_mov_b32 s0, -1
	s_clause 0x1
	flat_store_b32 v[60:61], v3
	flat_store_b32 v[68:69], v55 offset:4
	flat_load_b32 v80, v[64:65] offset:4
	scratch_store_b32 off, v0, s33 offset:68
	s_wait_loadcnt_dscnt 0x0
	v_cmp_lt_i32_e64 s17, 0, v80
	s_wait_xcnt 0x0
	s_and_saveexec_b32 s18, s17
	s_cbranch_execz .LBB6_985
; %bb.839:
	flat_load_b32 v0, v[60:61]
	v_mov_b64_e32 v[70:71], 0
	s_mov_b32 s19, 0
	s_mov_b32 s0, exec_lo
	s_wait_loadcnt_dscnt 0x0
	v_add_nc_u32_e32 v0, v0, v80
	s_wait_xcnt 0x0
	s_delay_alu instid0(VALU_DEP_1)
	v_cmpx_gt_i32_e32 0x2001, v0
	s_xor_b32 s0, exec_lo, s0
	s_cbranch_execz .LBB6_841
; %bb.840:
	v_dual_mov_b32 v81, 0 :: v_dual_ashrrev_i32 v1, 31, v0
	s_mov_b32 s19, exec_lo
	flat_store_b32 v[60:61], v0
	v_lshlrev_b64_e32 v[2:3], 2, v[80:81]
	v_lshl_add_u64 v[4:5], v[0:1], 2, v[60:61]
	s_delay_alu instid0(VALU_DEP_1) | instskip(NEXT) | instid1(VALU_DEP_1)
	v_sub_nc_u64_e32 v[2:3], v[4:5], v[2:3]
	v_add_nc_u64_e32 v[70:71], 4, v[2:3]
.LBB6_841:
	s_wait_xcnt 0x0
	s_or_saveexec_b32 s20, s0
	v_readlane_b32 s0, v73, 0
	s_xor_b32 exec_lo, exec_lo, s20
	s_cbranch_execz .LBB6_984
; %bb.842:
	s_load_b64 s[2:3], s[52:53], 0x50
	v_mbcnt_lo_u32_b32 v32, -1, 0
	v_mov_b64_e32 v[2:3], 0
	s_delay_alu instid0(VALU_DEP_2) | instskip(NEXT) | instid1(VALU_DEP_1)
	v_readfirstlane_b32 s0, v32
	v_cmp_eq_u32_e64 s0, s0, v32
	s_and_saveexec_b32 s1, s0
	s_cbranch_execz .LBB6_848
; %bb.843:
	v_mov_b32_e32 v0, 0
	s_mov_b32 s4, exec_lo
	s_wait_kmcnt 0x0
	global_load_b64 v[4:5], v0, s[2:3] offset:24 scope:SCOPE_SYS
	s_wait_loadcnt 0x0
	global_inv scope:SCOPE_SYS
	s_clause 0x1
	global_load_b64 v[2:3], v0, s[2:3] offset:40
	global_load_b64 v[6:7], v0, s[2:3]
	s_wait_loadcnt 0x1
	v_and_b32_e32 v2, v2, v4
	v_and_b32_e32 v3, v3, v5
	s_delay_alu instid0(VALU_DEP_1) | instskip(SKIP_1) | instid1(VALU_DEP_1)
	v_mul_u64_e32 v[2:3], 24, v[2:3]
	s_wait_loadcnt 0x0
	v_add_nc_u64_e32 v[2:3], v[6:7], v[2:3]
	global_load_b64 v[2:3], v[2:3], off scope:SCOPE_SYS
	s_wait_xcnt 0x0
	s_wait_loadcnt 0x0
	global_atomic_cmpswap_b64 v[2:3], v0, v[2:5], s[2:3] offset:24 th:TH_ATOMIC_RETURN scope:SCOPE_SYS
	s_wait_loadcnt 0x0
	global_inv scope:SCOPE_SYS
	s_wait_xcnt 0x0
	v_cmpx_ne_u64_e64 v[2:3], v[4:5]
	s_cbranch_execz .LBB6_847
; %bb.844:
	s_mov_b32 s5, 0
.LBB6_845:                              ; =>This Inner Loop Header: Depth=1
	s_sleep 1
	s_clause 0x1
	global_load_b64 v[6:7], v0, s[2:3] offset:40
	global_load_b64 v[8:9], v0, s[2:3]
	v_mov_b64_e32 v[4:5], v[2:3]
	s_wait_loadcnt 0x1
	s_delay_alu instid0(VALU_DEP_1) | instskip(SKIP_1) | instid1(VALU_DEP_1)
	v_and_b32_e32 v1, v6, v4
	s_wait_loadcnt 0x0
	v_mad_nc_u64_u32 v[2:3], v1, 24, v[8:9]
	s_delay_alu instid0(VALU_DEP_3) | instskip(NEXT) | instid1(VALU_DEP_1)
	v_and_b32_e32 v1, v7, v5
	v_mad_u32 v3, v1, 24, v3
	global_load_b64 v[2:3], v[2:3], off scope:SCOPE_SYS
	s_wait_xcnt 0x0
	s_wait_loadcnt 0x0
	global_atomic_cmpswap_b64 v[2:3], v0, v[2:5], s[2:3] offset:24 th:TH_ATOMIC_RETURN scope:SCOPE_SYS
	s_wait_loadcnt 0x0
	global_inv scope:SCOPE_SYS
	v_cmp_eq_u64_e32 vcc_lo, v[2:3], v[4:5]
	s_or_b32 s5, vcc_lo, s5
	s_wait_xcnt 0x0
	s_and_not1_b32 exec_lo, exec_lo, s5
	s_cbranch_execnz .LBB6_845
; %bb.846:
	s_or_b32 exec_lo, exec_lo, s5
.LBB6_847:
	s_delay_alu instid0(SALU_CYCLE_1)
	s_or_b32 exec_lo, exec_lo, s4
.LBB6_848:
	s_delay_alu instid0(SALU_CYCLE_1)
	s_or_b32 exec_lo, exec_lo, s1
	v_readfirstlane_b32 s4, v2
	v_mov_b32_e32 v1, 0
	v_readfirstlane_b32 s5, v3
	s_mov_b32 s1, exec_lo
	s_wait_kmcnt 0x0
	s_clause 0x1
	global_load_b64 v[8:9], v1, s[2:3] offset:40
	global_load_b128 v[4:7], v1, s[2:3]
	s_wait_loadcnt 0x1
	v_and_b32_e32 v10, s4, v8
	v_and_b32_e32 v11, s5, v9
	s_delay_alu instid0(VALU_DEP_1) | instskip(SKIP_1) | instid1(VALU_DEP_1)
	v_mul_u64_e32 v[2:3], 24, v[10:11]
	s_wait_loadcnt 0x0
	v_add_nc_u64_e32 v[8:9], v[4:5], v[2:3]
	s_wait_xcnt 0x0
	s_and_saveexec_b32 s6, s0
	s_cbranch_execz .LBB6_850
; %bb.849:
	v_mov_b64_e32 v[2:3], 0x100000002
	v_mov_b32_e32 v0, s1
	global_store_b128 v[8:9], v[0:3], off offset:8
.LBB6_850:
	s_wait_xcnt 0x0
	s_or_b32 exec_lo, exec_lo, s6
	v_lshlrev_b64_e32 v[2:3], 12, v[10:11]
	s_mov_b32 s8, 0
	v_dual_lshlrev_b32 v0, 6, v32 :: v_dual_mov_b32 v10, 33
	s_mov_b32 s10, s8
	s_mov_b32 s11, s8
	;; [unrolled: 1-line block ×3, first 2 shown]
	s_delay_alu instid0(VALU_DEP_2)
	v_add_nc_u64_e32 v[6:7], v[6:7], v[2:3]
	v_mov_b64_e32 v[16:17], s[10:11]
	v_mov_b64_e32 v[14:15], s[8:9]
	v_dual_mov_b32 v11, v1 :: v_dual_mov_b32 v12, v1
	v_mov_b32_e32 v13, v1
	v_readfirstlane_b32 s6, v6
	v_readfirstlane_b32 s7, v7
	s_clause 0x3
	global_store_b128 v0, v[10:13], s[6:7]
	global_store_b128 v0, v[14:17], s[6:7] offset:16
	global_store_b128 v0, v[14:17], s[6:7] offset:32
	;; [unrolled: 1-line block ×3, first 2 shown]
	s_wait_xcnt 0x0
	s_and_saveexec_b32 s1, s0
	s_cbranch_execz .LBB6_858
; %bb.851:
	v_dual_mov_b32 v12, 0 :: v_dual_mov_b32 v15, s5
	s_mov_b32 s6, exec_lo
	s_clause 0x1
	global_load_b64 v[16:17], v12, s[2:3] offset:32 scope:SCOPE_SYS
	global_load_b64 v[2:3], v12, s[2:3] offset:40
	s_wait_loadcnt 0x0
	v_dual_mov_b32 v14, s4 :: v_dual_bitop2_b32 v3, s5, v3 bitop3:0x40
	v_and_b32_e32 v2, s4, v2
	s_delay_alu instid0(VALU_DEP_1) | instskip(NEXT) | instid1(VALU_DEP_1)
	v_mul_u64_e32 v[2:3], 24, v[2:3]
	v_add_nc_u64_e32 v[10:11], v[4:5], v[2:3]
	global_store_b64 v[10:11], v[16:17], off
	global_wb scope:SCOPE_SYS
	s_wait_storecnt 0x0
	s_wait_xcnt 0x0
	global_atomic_cmpswap_b64 v[4:5], v12, v[14:17], s[2:3] offset:32 th:TH_ATOMIC_RETURN scope:SCOPE_SYS
	s_wait_loadcnt 0x0
	v_cmpx_ne_u64_e64 v[4:5], v[16:17]
	s_cbranch_execz .LBB6_854
; %bb.852:
	s_mov_b32 s7, 0
.LBB6_853:                              ; =>This Inner Loop Header: Depth=1
	v_dual_mov_b32 v2, s4 :: v_dual_mov_b32 v3, s5
	s_sleep 1
	global_store_b64 v[10:11], v[4:5], off
	global_wb scope:SCOPE_SYS
	s_wait_storecnt 0x0
	s_wait_xcnt 0x0
	global_atomic_cmpswap_b64 v[2:3], v12, v[2:5], s[2:3] offset:32 th:TH_ATOMIC_RETURN scope:SCOPE_SYS
	s_wait_loadcnt 0x0
	v_cmp_eq_u64_e32 vcc_lo, v[2:3], v[4:5]
	v_mov_b64_e32 v[4:5], v[2:3]
	s_or_b32 s7, vcc_lo, s7
	s_delay_alu instid0(SALU_CYCLE_1)
	s_and_not1_b32 exec_lo, exec_lo, s7
	s_cbranch_execnz .LBB6_853
.LBB6_854:
	s_or_b32 exec_lo, exec_lo, s6
	v_mov_b32_e32 v5, 0
	s_mov_b32 s7, exec_lo
	s_mov_b32 s6, exec_lo
	v_mbcnt_lo_u32_b32 v4, s7, 0
	global_load_b64 v[2:3], v5, s[2:3] offset:16
	s_wait_xcnt 0x0
	v_cmpx_eq_u32_e32 0, v4
	s_cbranch_execz .LBB6_856
; %bb.855:
	s_bcnt1_i32_b32 s7, s7
	s_delay_alu instid0(SALU_CYCLE_1)
	v_mov_b32_e32 v4, s7
	global_wb scope:SCOPE_SYS
	s_wait_loadcnt 0x0
	s_wait_storecnt 0x0
	global_atomic_add_u64 v[2:3], v[4:5], off offset:8 scope:SCOPE_SYS
.LBB6_856:
	s_wait_xcnt 0x0
	s_or_b32 exec_lo, exec_lo, s6
	s_wait_loadcnt 0x0
	global_load_b64 v[4:5], v[2:3], off offset:16
	s_wait_loadcnt 0x0
	v_cmp_eq_u64_e32 vcc_lo, 0, v[4:5]
	s_cbranch_vccnz .LBB6_858
; %bb.857:
	global_load_b32 v2, v[2:3], off offset:24
	s_wait_xcnt 0x0
	v_mov_b32_e32 v3, 0
	s_wait_loadcnt 0x0
	v_readfirstlane_b32 s6, v2
	global_wb scope:SCOPE_SYS
	s_wait_storecnt 0x0
	global_store_b64 v[4:5], v[2:3], off scope:SCOPE_SYS
	s_and_b32 m0, s6, 0xffffff
	s_sendmsg sendmsg(MSG_INTERRUPT)
.LBB6_858:
	s_wait_xcnt 0x0
	s_or_b32 exec_lo, exec_lo, s1
	v_add_nc_u64_e32 v[2:3], v[6:7], v[0:1]
	s_branch .LBB6_862
.LBB6_859:                              ;   in Loop: Header=BB6_862 Depth=1
	s_wait_xcnt 0x0
	s_or_b32 exec_lo, exec_lo, s1
	s_delay_alu instid0(VALU_DEP_1)
	v_readfirstlane_b32 s1, v1
	s_cmp_eq_u32 s1, 0
	s_cbranch_scc1 .LBB6_861
; %bb.860:                              ;   in Loop: Header=BB6_862 Depth=1
	s_sleep 1
	s_cbranch_execnz .LBB6_862
	s_branch .LBB6_864
.LBB6_861:
	s_branch .LBB6_864
.LBB6_862:                              ; =>This Inner Loop Header: Depth=1
	v_mov_b32_e32 v1, 1
	s_and_saveexec_b32 s1, s0
	s_cbranch_execz .LBB6_859
; %bb.863:                              ;   in Loop: Header=BB6_862 Depth=1
	global_load_b32 v1, v[8:9], off offset:20 scope:SCOPE_SYS
	s_wait_loadcnt 0x0
	global_inv scope:SCOPE_SYS
	v_and_b32_e32 v1, 1, v1
	s_branch .LBB6_859
.LBB6_864:
	global_load_b64 v[2:3], v[2:3], off
	s_wait_xcnt 0x0
	s_and_saveexec_b32 s6, s0
	s_cbranch_execz .LBB6_868
; %bb.865:
	v_mov_b32_e32 v1, 0
	s_clause 0x2
	global_load_b64 v[4:5], v1, s[2:3] offset:40
	global_load_b64 v[12:13], v1, s[2:3] offset:24 scope:SCOPE_SYS
	global_load_b64 v[6:7], v1, s[2:3]
	s_wait_loadcnt 0x2
	v_readfirstlane_b32 s8, v4
	v_readfirstlane_b32 s9, v5
	s_add_nc_u64 s[0:1], s[8:9], 1
	s_delay_alu instid0(SALU_CYCLE_1) | instskip(NEXT) | instid1(SALU_CYCLE_1)
	s_add_nc_u64 s[4:5], s[0:1], s[4:5]
	s_cmp_eq_u64 s[4:5], 0
	s_cselect_b32 s1, s1, s5
	s_cselect_b32 s0, s0, s4
	v_mov_b32_e32 v11, s1
	s_and_b64 s[4:5], s[0:1], s[8:9]
	v_mov_b32_e32 v10, s0
	s_mul_u64 s[4:5], s[4:5], 24
	s_wait_loadcnt 0x0
	v_add_nc_u64_e32 v[8:9], s[4:5], v[6:7]
	global_store_b64 v[8:9], v[12:13], off
	global_wb scope:SCOPE_SYS
	s_wait_storecnt 0x0
	s_wait_xcnt 0x0
	global_atomic_cmpswap_b64 v[6:7], v1, v[10:13], s[2:3] offset:24 th:TH_ATOMIC_RETURN scope:SCOPE_SYS
	s_wait_loadcnt 0x0
	v_cmp_ne_u64_e32 vcc_lo, v[6:7], v[12:13]
	s_and_b32 exec_lo, exec_lo, vcc_lo
	s_cbranch_execz .LBB6_868
; %bb.866:
	s_mov_b32 s4, 0
.LBB6_867:                              ; =>This Inner Loop Header: Depth=1
	v_dual_mov_b32 v4, s0 :: v_dual_mov_b32 v5, s1
	s_sleep 1
	global_store_b64 v[8:9], v[6:7], off
	global_wb scope:SCOPE_SYS
	s_wait_storecnt 0x0
	s_wait_xcnt 0x0
	global_atomic_cmpswap_b64 v[4:5], v1, v[4:7], s[2:3] offset:24 th:TH_ATOMIC_RETURN scope:SCOPE_SYS
	s_wait_loadcnt 0x0
	v_cmp_eq_u64_e32 vcc_lo, v[4:5], v[6:7]
	v_mov_b64_e32 v[6:7], v[4:5]
	s_or_b32 s4, vcc_lo, s4
	s_delay_alu instid0(SALU_CYCLE_1)
	s_and_not1_b32 exec_lo, exec_lo, s4
	s_cbranch_execnz .LBB6_867
.LBB6_868:
	s_or_b32 exec_lo, exec_lo, s6
	s_get_pc_i64 s[4:5]
	s_add_nc_u64 s[4:5], s[4:5], .str.28@rel64+4
	s_delay_alu instid0(SALU_CYCLE_1)
	s_cmp_lg_u64 s[4:5], 0
	s_cbranch_scc0 .LBB6_954
; %bb.869:
	v_mov_b64_e32 v[6:7], 0x100000002
	s_wait_loadcnt 0x0
	v_dual_mov_b32 v9, v3 :: v_dual_bitop2_b32 v8, -3, v2 bitop3:0x40
	v_mov_b32_e32 v5, 0
	s_mov_b64 s[6:7], 35
	s_branch .LBB6_871
.LBB6_870:                              ;   in Loop: Header=BB6_871 Depth=1
	s_or_b32 exec_lo, exec_lo, s12
	s_sub_nc_u64 s[6:7], s[6:7], s[8:9]
	s_add_nc_u64 s[4:5], s[4:5], s[8:9]
	s_cmp_lg_u64 s[6:7], 0
	s_cbranch_scc0 .LBB6_953
.LBB6_871:                              ; =>This Loop Header: Depth=1
                                        ;     Child Loop BB6_874 Depth 2
                                        ;     Child Loop BB6_882 Depth 2
	;; [unrolled: 1-line block ×11, first 2 shown]
	s_wait_loadcnt 0x0
	v_min_u64 v[10:11], s[6:7], 56
	v_cmp_gt_u64_e64 s0, s[6:7], 7
	s_and_b32 vcc_lo, exec_lo, s0
	v_readfirstlane_b32 s8, v10
	v_readfirstlane_b32 s9, v11
	s_cbranch_vccnz .LBB6_876
; %bb.872:                              ;   in Loop: Header=BB6_871 Depth=1
	v_mov_b64_e32 v[10:11], 0
	s_cmp_eq_u64 s[6:7], 0
	s_cbranch_scc1 .LBB6_875
; %bb.873:                              ;   in Loop: Header=BB6_871 Depth=1
	s_mov_b64 s[0:1], 0
	s_mov_b64 s[10:11], 0
.LBB6_874:                              ;   Parent Loop BB6_871 Depth=1
                                        ; =>  This Inner Loop Header: Depth=2
	s_wait_xcnt 0x0
	s_add_nc_u64 s[12:13], s[4:5], s[10:11]
	s_add_nc_u64 s[10:11], s[10:11], 1
	global_load_u8 v1, v5, s[12:13]
	s_cmp_lg_u32 s8, s10
	s_wait_loadcnt 0x0
	v_and_b32_e32 v4, 0xffff, v1
	s_delay_alu instid0(VALU_DEP_1) | instskip(SKIP_1) | instid1(VALU_DEP_1)
	v_lshlrev_b64_e32 v[12:13], s0, v[4:5]
	s_add_nc_u64 s[0:1], s[0:1], 8
	v_or_b32_e32 v10, v12, v10
	s_delay_alu instid0(VALU_DEP_2)
	v_or_b32_e32 v11, v13, v11
	s_cbranch_scc1 .LBB6_874
.LBB6_875:                              ;   in Loop: Header=BB6_871 Depth=1
	s_mov_b32 s0, 0
	s_mov_b64 s[10:11], s[4:5]
	s_branch .LBB6_877
.LBB6_876:                              ;   in Loop: Header=BB6_871 Depth=1
	s_add_nc_u64 s[10:11], s[4:5], 8
	s_mov_b32 s0, -1
.LBB6_877:                              ;   in Loop: Header=BB6_871 Depth=1
	s_delay_alu instid0(SALU_CYCLE_1)
	s_and_not1_b32 vcc_lo, exec_lo, s0
	s_mov_b32 s14, 0
	s_cbranch_vccnz .LBB6_879
; %bb.878:                              ;   in Loop: Header=BB6_871 Depth=1
	global_load_b64 v[10:11], v5, s[4:5]
	s_add_co_i32 s14, s8, -8
.LBB6_879:                              ;   in Loop: Header=BB6_871 Depth=1
	s_delay_alu instid0(SALU_CYCLE_1)
	s_cmp_gt_u32 s14, 7
	s_cbranch_scc1 .LBB6_884
; %bb.880:                              ;   in Loop: Header=BB6_871 Depth=1
	v_mov_b64_e32 v[12:13], 0
	s_cmp_eq_u32 s14, 0
	s_cbranch_scc1 .LBB6_883
; %bb.881:                              ;   in Loop: Header=BB6_871 Depth=1
	s_mov_b64 s[0:1], 0
	s_wait_xcnt 0x0
	s_mov_b64 s[12:13], 0
.LBB6_882:                              ;   Parent Loop BB6_871 Depth=1
                                        ; =>  This Inner Loop Header: Depth=2
	s_wait_xcnt 0x0
	s_add_nc_u64 s[22:23], s[10:11], s[12:13]
	s_add_nc_u64 s[12:13], s[12:13], 1
	global_load_u8 v1, v5, s[22:23]
	s_cmp_lg_u32 s14, s12
	s_wait_loadcnt 0x0
	v_and_b32_e32 v4, 0xffff, v1
	s_delay_alu instid0(VALU_DEP_1) | instskip(SKIP_1) | instid1(VALU_DEP_1)
	v_lshlrev_b64_e32 v[14:15], s0, v[4:5]
	s_add_nc_u64 s[0:1], s[0:1], 8
	v_or_b32_e32 v12, v14, v12
	s_delay_alu instid0(VALU_DEP_2)
	v_or_b32_e32 v13, v15, v13
	s_cbranch_scc1 .LBB6_882
.LBB6_883:                              ;   in Loop: Header=BB6_871 Depth=1
	s_wait_xcnt 0x0
	s_mov_b32 s12, 0
	s_mov_b64 s[0:1], s[10:11]
	s_branch .LBB6_885
.LBB6_884:                              ;   in Loop: Header=BB6_871 Depth=1
	s_add_nc_u64 s[0:1], s[10:11], 8
	s_wait_xcnt 0x0
	s_mov_b32 s12, -1
                                        ; implicit-def: $vgpr12_vgpr13
.LBB6_885:                              ;   in Loop: Header=BB6_871 Depth=1
	s_delay_alu instid0(SALU_CYCLE_1)
	s_and_not1_b32 vcc_lo, exec_lo, s12
	s_mov_b32 s15, 0
	s_cbranch_vccnz .LBB6_887
; %bb.886:                              ;   in Loop: Header=BB6_871 Depth=1
	global_load_b64 v[12:13], v5, s[10:11]
	s_add_co_i32 s15, s14, -8
.LBB6_887:                              ;   in Loop: Header=BB6_871 Depth=1
	s_delay_alu instid0(SALU_CYCLE_1)
	s_cmp_gt_u32 s15, 7
	s_cbranch_scc1 .LBB6_892
; %bb.888:                              ;   in Loop: Header=BB6_871 Depth=1
	v_mov_b64_e32 v[14:15], 0
	s_cmp_eq_u32 s15, 0
	s_cbranch_scc1 .LBB6_891
; %bb.889:                              ;   in Loop: Header=BB6_871 Depth=1
	s_wait_xcnt 0x0
	s_mov_b64 s[10:11], 0
	s_mov_b64 s[12:13], 0
.LBB6_890:                              ;   Parent Loop BB6_871 Depth=1
                                        ; =>  This Inner Loop Header: Depth=2
	s_wait_xcnt 0x0
	s_add_nc_u64 s[22:23], s[0:1], s[12:13]
	s_add_nc_u64 s[12:13], s[12:13], 1
	global_load_u8 v1, v5, s[22:23]
	s_cmp_lg_u32 s15, s12
	s_wait_loadcnt 0x0
	v_and_b32_e32 v4, 0xffff, v1
	s_delay_alu instid0(VALU_DEP_1) | instskip(SKIP_1) | instid1(VALU_DEP_1)
	v_lshlrev_b64_e32 v[16:17], s10, v[4:5]
	s_add_nc_u64 s[10:11], s[10:11], 8
	v_or_b32_e32 v14, v16, v14
	s_delay_alu instid0(VALU_DEP_2)
	v_or_b32_e32 v15, v17, v15
	s_cbranch_scc1 .LBB6_890
.LBB6_891:                              ;   in Loop: Header=BB6_871 Depth=1
	s_mov_b32 s12, 0
	s_wait_xcnt 0x0
	s_mov_b64 s[10:11], s[0:1]
	s_branch .LBB6_893
.LBB6_892:                              ;   in Loop: Header=BB6_871 Depth=1
	s_wait_xcnt 0x0
	s_add_nc_u64 s[10:11], s[0:1], 8
	s_mov_b32 s12, -1
.LBB6_893:                              ;   in Loop: Header=BB6_871 Depth=1
	s_delay_alu instid0(SALU_CYCLE_1)
	s_and_not1_b32 vcc_lo, exec_lo, s12
	s_mov_b32 s14, 0
	s_cbranch_vccnz .LBB6_895
; %bb.894:                              ;   in Loop: Header=BB6_871 Depth=1
	global_load_b64 v[14:15], v5, s[0:1]
	s_add_co_i32 s14, s15, -8
.LBB6_895:                              ;   in Loop: Header=BB6_871 Depth=1
	s_delay_alu instid0(SALU_CYCLE_1)
	s_cmp_gt_u32 s14, 7
	s_cbranch_scc1 .LBB6_900
; %bb.896:                              ;   in Loop: Header=BB6_871 Depth=1
	v_mov_b64_e32 v[16:17], 0
	s_cmp_eq_u32 s14, 0
	s_cbranch_scc1 .LBB6_899
; %bb.897:                              ;   in Loop: Header=BB6_871 Depth=1
	s_wait_xcnt 0x0
	s_mov_b64 s[0:1], 0
	s_mov_b64 s[12:13], 0
.LBB6_898:                              ;   Parent Loop BB6_871 Depth=1
                                        ; =>  This Inner Loop Header: Depth=2
	s_wait_xcnt 0x0
	s_add_nc_u64 s[22:23], s[10:11], s[12:13]
	s_add_nc_u64 s[12:13], s[12:13], 1
	global_load_u8 v1, v5, s[22:23]
	s_cmp_lg_u32 s14, s12
	s_wait_loadcnt 0x0
	v_and_b32_e32 v4, 0xffff, v1
	s_delay_alu instid0(VALU_DEP_1) | instskip(SKIP_1) | instid1(VALU_DEP_1)
	v_lshlrev_b64_e32 v[18:19], s0, v[4:5]
	s_add_nc_u64 s[0:1], s[0:1], 8
	v_or_b32_e32 v16, v18, v16
	s_delay_alu instid0(VALU_DEP_2)
	v_or_b32_e32 v17, v19, v17
	s_cbranch_scc1 .LBB6_898
.LBB6_899:                              ;   in Loop: Header=BB6_871 Depth=1
	s_mov_b32 s12, 0
	s_wait_xcnt 0x0
	s_mov_b64 s[0:1], s[10:11]
	s_branch .LBB6_901
.LBB6_900:                              ;   in Loop: Header=BB6_871 Depth=1
	s_wait_xcnt 0x0
	s_add_nc_u64 s[0:1], s[10:11], 8
	s_mov_b32 s12, -1
                                        ; implicit-def: $vgpr16_vgpr17
.LBB6_901:                              ;   in Loop: Header=BB6_871 Depth=1
	s_delay_alu instid0(SALU_CYCLE_1)
	s_and_not1_b32 vcc_lo, exec_lo, s12
	s_mov_b32 s15, 0
	s_cbranch_vccnz .LBB6_903
; %bb.902:                              ;   in Loop: Header=BB6_871 Depth=1
	global_load_b64 v[16:17], v5, s[10:11]
	s_add_co_i32 s15, s14, -8
.LBB6_903:                              ;   in Loop: Header=BB6_871 Depth=1
	s_delay_alu instid0(SALU_CYCLE_1)
	s_cmp_gt_u32 s15, 7
	s_cbranch_scc1 .LBB6_908
; %bb.904:                              ;   in Loop: Header=BB6_871 Depth=1
	v_mov_b64_e32 v[18:19], 0
	s_cmp_eq_u32 s15, 0
	s_cbranch_scc1 .LBB6_907
; %bb.905:                              ;   in Loop: Header=BB6_871 Depth=1
	s_wait_xcnt 0x0
	s_mov_b64 s[10:11], 0
	s_mov_b64 s[12:13], 0
.LBB6_906:                              ;   Parent Loop BB6_871 Depth=1
                                        ; =>  This Inner Loop Header: Depth=2
	s_wait_xcnt 0x0
	s_add_nc_u64 s[22:23], s[0:1], s[12:13]
	s_add_nc_u64 s[12:13], s[12:13], 1
	global_load_u8 v1, v5, s[22:23]
	s_cmp_lg_u32 s15, s12
	s_wait_loadcnt 0x0
	v_and_b32_e32 v4, 0xffff, v1
	s_delay_alu instid0(VALU_DEP_1) | instskip(SKIP_1) | instid1(VALU_DEP_1)
	v_lshlrev_b64_e32 v[20:21], s10, v[4:5]
	s_add_nc_u64 s[10:11], s[10:11], 8
	v_or_b32_e32 v18, v20, v18
	s_delay_alu instid0(VALU_DEP_2)
	v_or_b32_e32 v19, v21, v19
	s_cbranch_scc1 .LBB6_906
.LBB6_907:                              ;   in Loop: Header=BB6_871 Depth=1
	s_mov_b32 s12, 0
	s_wait_xcnt 0x0
	s_mov_b64 s[10:11], s[0:1]
	s_branch .LBB6_909
.LBB6_908:                              ;   in Loop: Header=BB6_871 Depth=1
	s_wait_xcnt 0x0
	s_add_nc_u64 s[10:11], s[0:1], 8
	s_mov_b32 s12, -1
.LBB6_909:                              ;   in Loop: Header=BB6_871 Depth=1
	s_delay_alu instid0(SALU_CYCLE_1)
	s_and_not1_b32 vcc_lo, exec_lo, s12
	s_mov_b32 s14, 0
	s_cbranch_vccnz .LBB6_911
; %bb.910:                              ;   in Loop: Header=BB6_871 Depth=1
	global_load_b64 v[18:19], v5, s[0:1]
	s_add_co_i32 s14, s15, -8
.LBB6_911:                              ;   in Loop: Header=BB6_871 Depth=1
	s_delay_alu instid0(SALU_CYCLE_1)
	s_cmp_gt_u32 s14, 7
	s_cbranch_scc1 .LBB6_916
; %bb.912:                              ;   in Loop: Header=BB6_871 Depth=1
	v_mov_b64_e32 v[20:21], 0
	s_cmp_eq_u32 s14, 0
	s_cbranch_scc1 .LBB6_915
; %bb.913:                              ;   in Loop: Header=BB6_871 Depth=1
	s_wait_xcnt 0x0
	s_mov_b64 s[0:1], 0
	s_mov_b64 s[12:13], 0
.LBB6_914:                              ;   Parent Loop BB6_871 Depth=1
                                        ; =>  This Inner Loop Header: Depth=2
	s_wait_xcnt 0x0
	s_add_nc_u64 s[22:23], s[10:11], s[12:13]
	s_add_nc_u64 s[12:13], s[12:13], 1
	global_load_u8 v1, v5, s[22:23]
	s_cmp_lg_u32 s14, s12
	s_wait_loadcnt 0x0
	v_and_b32_e32 v4, 0xffff, v1
	s_delay_alu instid0(VALU_DEP_1) | instskip(SKIP_1) | instid1(VALU_DEP_1)
	v_lshlrev_b64_e32 v[22:23], s0, v[4:5]
	s_add_nc_u64 s[0:1], s[0:1], 8
	v_or_b32_e32 v20, v22, v20
	s_delay_alu instid0(VALU_DEP_2)
	v_or_b32_e32 v21, v23, v21
	s_cbranch_scc1 .LBB6_914
.LBB6_915:                              ;   in Loop: Header=BB6_871 Depth=1
	s_mov_b32 s12, 0
	s_wait_xcnt 0x0
	s_mov_b64 s[0:1], s[10:11]
	s_branch .LBB6_917
.LBB6_916:                              ;   in Loop: Header=BB6_871 Depth=1
	s_wait_xcnt 0x0
	s_add_nc_u64 s[0:1], s[10:11], 8
	s_mov_b32 s12, -1
                                        ; implicit-def: $vgpr20_vgpr21
.LBB6_917:                              ;   in Loop: Header=BB6_871 Depth=1
	s_delay_alu instid0(SALU_CYCLE_1)
	s_and_not1_b32 vcc_lo, exec_lo, s12
	s_mov_b32 s15, 0
	s_cbranch_vccnz .LBB6_919
; %bb.918:                              ;   in Loop: Header=BB6_871 Depth=1
	global_load_b64 v[20:21], v5, s[10:11]
	s_add_co_i32 s15, s14, -8
.LBB6_919:                              ;   in Loop: Header=BB6_871 Depth=1
	s_delay_alu instid0(SALU_CYCLE_1)
	s_cmp_gt_u32 s15, 7
	s_cbranch_scc1 .LBB6_924
; %bb.920:                              ;   in Loop: Header=BB6_871 Depth=1
	v_mov_b64_e32 v[22:23], 0
	s_cmp_eq_u32 s15, 0
	s_cbranch_scc1 .LBB6_923
; %bb.921:                              ;   in Loop: Header=BB6_871 Depth=1
	s_wait_xcnt 0x0
	s_mov_b64 s[10:11], 0
	s_mov_b64 s[12:13], s[0:1]
.LBB6_922:                              ;   Parent Loop BB6_871 Depth=1
                                        ; =>  This Inner Loop Header: Depth=2
	global_load_u8 v1, v5, s[12:13]
	s_add_co_i32 s15, s15, -1
	s_wait_xcnt 0x0
	s_add_nc_u64 s[12:13], s[12:13], 1
	s_cmp_lg_u32 s15, 0
	s_wait_loadcnt 0x0
	v_and_b32_e32 v4, 0xffff, v1
	s_delay_alu instid0(VALU_DEP_1) | instskip(SKIP_1) | instid1(VALU_DEP_1)
	v_lshlrev_b64_e32 v[24:25], s10, v[4:5]
	s_add_nc_u64 s[10:11], s[10:11], 8
	v_or_b32_e32 v22, v24, v22
	s_delay_alu instid0(VALU_DEP_2)
	v_or_b32_e32 v23, v25, v23
	s_cbranch_scc1 .LBB6_922
.LBB6_923:                              ;   in Loop: Header=BB6_871 Depth=1
	s_wait_xcnt 0x0
	s_mov_b32 s10, 0
	s_branch .LBB6_925
.LBB6_924:                              ;   in Loop: Header=BB6_871 Depth=1
	s_wait_xcnt 0x0
	s_mov_b32 s10, -1
.LBB6_925:                              ;   in Loop: Header=BB6_871 Depth=1
	s_delay_alu instid0(SALU_CYCLE_1)
	s_and_not1_b32 vcc_lo, exec_lo, s10
	s_cbranch_vccnz .LBB6_927
; %bb.926:                              ;   in Loop: Header=BB6_871 Depth=1
	global_load_b64 v[22:23], v5, s[0:1]
.LBB6_927:                              ;   in Loop: Header=BB6_871 Depth=1
	s_wait_xcnt 0x0
	v_readfirstlane_b32 s0, v32
	v_mov_b64_e32 v[28:29], 0
	s_delay_alu instid0(VALU_DEP_2)
	v_cmp_eq_u32_e64 s0, s0, v32
	s_and_saveexec_b32 s1, s0
	s_cbranch_execz .LBB6_933
; %bb.928:                              ;   in Loop: Header=BB6_871 Depth=1
	global_load_b64 v[26:27], v5, s[2:3] offset:24 scope:SCOPE_SYS
	s_wait_loadcnt 0x0
	global_inv scope:SCOPE_SYS
	s_clause 0x1
	global_load_b64 v[24:25], v5, s[2:3] offset:40
	global_load_b64 v[28:29], v5, s[2:3]
	s_mov_b32 s10, exec_lo
	s_wait_loadcnt 0x1
	v_and_b32_e32 v24, v24, v26
	v_and_b32_e32 v25, v25, v27
	s_delay_alu instid0(VALU_DEP_1) | instskip(SKIP_1) | instid1(VALU_DEP_1)
	v_mul_u64_e32 v[24:25], 24, v[24:25]
	s_wait_loadcnt 0x0
	v_add_nc_u64_e32 v[24:25], v[28:29], v[24:25]
	global_load_b64 v[24:25], v[24:25], off scope:SCOPE_SYS
	s_wait_xcnt 0x0
	s_wait_loadcnt 0x0
	global_atomic_cmpswap_b64 v[28:29], v5, v[24:27], s[2:3] offset:24 th:TH_ATOMIC_RETURN scope:SCOPE_SYS
	s_wait_loadcnt 0x0
	global_inv scope:SCOPE_SYS
	s_wait_xcnt 0x0
	v_cmpx_ne_u64_e64 v[28:29], v[26:27]
	s_cbranch_execz .LBB6_932
; %bb.929:                              ;   in Loop: Header=BB6_871 Depth=1
	s_mov_b32 s11, 0
.LBB6_930:                              ;   Parent Loop BB6_871 Depth=1
                                        ; =>  This Inner Loop Header: Depth=2
	s_sleep 1
	s_clause 0x1
	global_load_b64 v[24:25], v5, s[2:3] offset:40
	global_load_b64 v[30:31], v5, s[2:3]
	v_mov_b64_e32 v[26:27], v[28:29]
	s_wait_loadcnt 0x1
	s_delay_alu instid0(VALU_DEP_1) | instskip(SKIP_1) | instid1(VALU_DEP_1)
	v_and_b32_e32 v1, v24, v26
	s_wait_loadcnt 0x0
	v_mad_nc_u64_u32 v[28:29], v1, 24, v[30:31]
	s_delay_alu instid0(VALU_DEP_3) | instskip(NEXT) | instid1(VALU_DEP_1)
	v_and_b32_e32 v1, v25, v27
	v_mad_u32 v29, v1, 24, v29
	global_load_b64 v[24:25], v[28:29], off scope:SCOPE_SYS
	s_wait_xcnt 0x0
	s_wait_loadcnt 0x0
	global_atomic_cmpswap_b64 v[28:29], v5, v[24:27], s[2:3] offset:24 th:TH_ATOMIC_RETURN scope:SCOPE_SYS
	s_wait_loadcnt 0x0
	global_inv scope:SCOPE_SYS
	v_cmp_eq_u64_e32 vcc_lo, v[28:29], v[26:27]
	s_or_b32 s11, vcc_lo, s11
	s_wait_xcnt 0x0
	s_and_not1_b32 exec_lo, exec_lo, s11
	s_cbranch_execnz .LBB6_930
; %bb.931:                              ;   in Loop: Header=BB6_871 Depth=1
	s_or_b32 exec_lo, exec_lo, s11
.LBB6_932:                              ;   in Loop: Header=BB6_871 Depth=1
	s_delay_alu instid0(SALU_CYCLE_1)
	s_or_b32 exec_lo, exec_lo, s10
.LBB6_933:                              ;   in Loop: Header=BB6_871 Depth=1
	s_delay_alu instid0(SALU_CYCLE_1)
	s_or_b32 exec_lo, exec_lo, s1
	s_clause 0x1
	global_load_b64 v[30:31], v5, s[2:3] offset:40
	global_load_b128 v[24:27], v5, s[2:3]
	v_readfirstlane_b32 s10, v28
	v_readfirstlane_b32 s11, v29
	s_mov_b32 s1, exec_lo
	s_wait_loadcnt 0x1
	v_and_b32_e32 v30, s10, v30
	v_and_b32_e32 v31, s11, v31
	s_delay_alu instid0(VALU_DEP_1) | instskip(SKIP_1) | instid1(VALU_DEP_1)
	v_mul_u64_e32 v[28:29], 24, v[30:31]
	s_wait_loadcnt 0x0
	v_add_nc_u64_e32 v[28:29], v[24:25], v[28:29]
	s_wait_xcnt 0x0
	s_and_saveexec_b32 s12, s0
	s_cbranch_execz .LBB6_935
; %bb.934:                              ;   in Loop: Header=BB6_871 Depth=1
	v_mov_b32_e32 v4, s1
	global_store_b128 v[28:29], v[4:7], off offset:8
.LBB6_935:                              ;   in Loop: Header=BB6_871 Depth=1
	s_wait_xcnt 0x0
	s_or_b32 exec_lo, exec_lo, s12
	v_cmp_gt_u64_e64 s1, s[6:7], 56
	v_lshlrev_b64_e32 v[30:31], 12, v[30:31]
	v_and_b32_e32 v1, 0xffffff1f, v8
	s_and_b32 s1, s1, exec_lo
	s_delay_alu instid0(VALU_DEP_2) | instskip(SKIP_4) | instid1(VALU_DEP_2)
	v_add_nc_u64_e32 v[26:27], v[26:27], v[30:31]
	s_cselect_b32 s1, 0, 2
	s_lshl_b32 s12, s8, 2
	v_or_b32_e32 v1, s1, v1
	s_add_co_i32 s1, s12, 28
	v_readfirstlane_b32 s12, v26
	s_delay_alu instid0(VALU_DEP_3) | instskip(NEXT) | instid1(VALU_DEP_3)
	v_readfirstlane_b32 s13, v27
	v_and_or_b32 v8, 0x1e0, s1, v1
	s_clause 0x3
	global_store_b128 v0, v[8:11], s[12:13]
	global_store_b128 v0, v[12:15], s[12:13] offset:16
	global_store_b128 v0, v[16:19], s[12:13] offset:32
	;; [unrolled: 1-line block ×3, first 2 shown]
	s_wait_xcnt 0x0
	s_and_saveexec_b32 s1, s0
	s_cbranch_execz .LBB6_943
; %bb.936:                              ;   in Loop: Header=BB6_871 Depth=1
	s_clause 0x1
	global_load_b64 v[16:17], v5, s[2:3] offset:32 scope:SCOPE_SYS
	global_load_b64 v[8:9], v5, s[2:3] offset:40
	s_mov_b32 s12, exec_lo
	v_dual_mov_b32 v14, s10 :: v_dual_mov_b32 v15, s11
	s_wait_loadcnt 0x0
	v_and_b32_e32 v9, s11, v9
	v_and_b32_e32 v8, s10, v8
	s_delay_alu instid0(VALU_DEP_1) | instskip(NEXT) | instid1(VALU_DEP_1)
	v_mul_u64_e32 v[8:9], 24, v[8:9]
	v_add_nc_u64_e32 v[12:13], v[24:25], v[8:9]
	global_store_b64 v[12:13], v[16:17], off
	global_wb scope:SCOPE_SYS
	s_wait_storecnt 0x0
	s_wait_xcnt 0x0
	global_atomic_cmpswap_b64 v[10:11], v5, v[14:17], s[2:3] offset:32 th:TH_ATOMIC_RETURN scope:SCOPE_SYS
	s_wait_loadcnt 0x0
	v_cmpx_ne_u64_e64 v[10:11], v[16:17]
	s_cbranch_execz .LBB6_939
; %bb.937:                              ;   in Loop: Header=BB6_871 Depth=1
	s_mov_b32 s13, 0
.LBB6_938:                              ;   Parent Loop BB6_871 Depth=1
                                        ; =>  This Inner Loop Header: Depth=2
	v_dual_mov_b32 v8, s10 :: v_dual_mov_b32 v9, s11
	s_sleep 1
	global_store_b64 v[12:13], v[10:11], off
	global_wb scope:SCOPE_SYS
	s_wait_storecnt 0x0
	s_wait_xcnt 0x0
	global_atomic_cmpswap_b64 v[8:9], v5, v[8:11], s[2:3] offset:32 th:TH_ATOMIC_RETURN scope:SCOPE_SYS
	s_wait_loadcnt 0x0
	v_cmp_eq_u64_e32 vcc_lo, v[8:9], v[10:11]
	v_mov_b64_e32 v[10:11], v[8:9]
	s_or_b32 s13, vcc_lo, s13
	s_delay_alu instid0(SALU_CYCLE_1)
	s_and_not1_b32 exec_lo, exec_lo, s13
	s_cbranch_execnz .LBB6_938
.LBB6_939:                              ;   in Loop: Header=BB6_871 Depth=1
	s_or_b32 exec_lo, exec_lo, s12
	global_load_b64 v[8:9], v5, s[2:3] offset:16
	s_mov_b32 s13, exec_lo
	s_mov_b32 s12, exec_lo
	v_mbcnt_lo_u32_b32 v1, s13, 0
	s_wait_xcnt 0x0
	s_delay_alu instid0(VALU_DEP_1)
	v_cmpx_eq_u32_e32 0, v1
	s_cbranch_execz .LBB6_941
; %bb.940:                              ;   in Loop: Header=BB6_871 Depth=1
	s_bcnt1_i32_b32 s13, s13
	s_delay_alu instid0(SALU_CYCLE_1)
	v_mov_b32_e32 v4, s13
	global_wb scope:SCOPE_SYS
	s_wait_loadcnt 0x0
	s_wait_storecnt 0x0
	global_atomic_add_u64 v[8:9], v[4:5], off offset:8 scope:SCOPE_SYS
.LBB6_941:                              ;   in Loop: Header=BB6_871 Depth=1
	s_wait_xcnt 0x0
	s_or_b32 exec_lo, exec_lo, s12
	s_wait_loadcnt 0x0
	global_load_b64 v[10:11], v[8:9], off offset:16
	s_wait_loadcnt 0x0
	v_cmp_eq_u64_e32 vcc_lo, 0, v[10:11]
	s_cbranch_vccnz .LBB6_943
; %bb.942:                              ;   in Loop: Header=BB6_871 Depth=1
	global_load_b32 v4, v[8:9], off offset:24
	s_wait_loadcnt 0x0
	v_readfirstlane_b32 s12, v4
	global_wb scope:SCOPE_SYS
	s_wait_storecnt 0x0
	s_wait_xcnt 0x0
	global_store_b64 v[10:11], v[4:5], off scope:SCOPE_SYS
	s_and_b32 m0, s12, 0xffffff
	s_sendmsg sendmsg(MSG_INTERRUPT)
.LBB6_943:                              ;   in Loop: Header=BB6_871 Depth=1
	s_wait_xcnt 0x0
	s_or_b32 exec_lo, exec_lo, s1
	v_mov_b32_e32 v1, v5
	s_delay_alu instid0(VALU_DEP_1)
	v_add_nc_u64_e32 v[8:9], v[26:27], v[0:1]
	s_branch .LBB6_947
.LBB6_944:                              ;   in Loop: Header=BB6_947 Depth=2
	s_wait_xcnt 0x0
	s_or_b32 exec_lo, exec_lo, s1
	s_delay_alu instid0(VALU_DEP_1)
	v_readfirstlane_b32 s1, v1
	s_cmp_eq_u32 s1, 0
	s_cbranch_scc1 .LBB6_946
; %bb.945:                              ;   in Loop: Header=BB6_947 Depth=2
	s_sleep 1
	s_cbranch_execnz .LBB6_947
	s_branch .LBB6_949
.LBB6_946:                              ;   in Loop: Header=BB6_871 Depth=1
	s_branch .LBB6_949
.LBB6_947:                              ;   Parent Loop BB6_871 Depth=1
                                        ; =>  This Inner Loop Header: Depth=2
	v_mov_b32_e32 v1, 1
	s_and_saveexec_b32 s1, s0
	s_cbranch_execz .LBB6_944
; %bb.948:                              ;   in Loop: Header=BB6_947 Depth=2
	global_load_b32 v1, v[28:29], off offset:20 scope:SCOPE_SYS
	s_wait_loadcnt 0x0
	global_inv scope:SCOPE_SYS
	v_and_b32_e32 v1, 1, v1
	s_branch .LBB6_944
.LBB6_949:                              ;   in Loop: Header=BB6_871 Depth=1
	global_load_b128 v[8:11], v[8:9], off
	s_wait_xcnt 0x0
	s_and_saveexec_b32 s12, s0
	s_cbranch_execz .LBB6_870
; %bb.950:                              ;   in Loop: Header=BB6_871 Depth=1
	s_wait_loadcnt 0x0
	s_clause 0x2
	global_load_b64 v[10:11], v5, s[2:3] offset:40
	global_load_b64 v[18:19], v5, s[2:3] offset:24 scope:SCOPE_SYS
	global_load_b64 v[12:13], v5, s[2:3]
	s_wait_loadcnt 0x2
	v_readfirstlane_b32 s14, v10
	v_readfirstlane_b32 s15, v11
	s_add_nc_u64 s[0:1], s[14:15], 1
	s_delay_alu instid0(SALU_CYCLE_1) | instskip(NEXT) | instid1(SALU_CYCLE_1)
	s_add_nc_u64 s[10:11], s[0:1], s[10:11]
	s_cmp_eq_u64 s[10:11], 0
	s_cselect_b32 s1, s1, s11
	s_cselect_b32 s0, s0, s10
	s_delay_alu instid0(SALU_CYCLE_1) | instskip(SKIP_1) | instid1(SALU_CYCLE_1)
	v_dual_mov_b32 v17, s1 :: v_dual_mov_b32 v16, s0
	s_and_b64 s[10:11], s[0:1], s[14:15]
	s_mul_u64 s[10:11], s[10:11], 24
	s_wait_loadcnt 0x0
	v_add_nc_u64_e32 v[14:15], s[10:11], v[12:13]
	global_store_b64 v[14:15], v[18:19], off
	global_wb scope:SCOPE_SYS
	s_wait_storecnt 0x0
	s_wait_xcnt 0x0
	global_atomic_cmpswap_b64 v[12:13], v5, v[16:19], s[2:3] offset:24 th:TH_ATOMIC_RETURN scope:SCOPE_SYS
	s_wait_loadcnt 0x0
	v_cmp_ne_u64_e32 vcc_lo, v[12:13], v[18:19]
	s_and_b32 exec_lo, exec_lo, vcc_lo
	s_cbranch_execz .LBB6_870
; %bb.951:                              ;   in Loop: Header=BB6_871 Depth=1
	s_mov_b32 s10, 0
.LBB6_952:                              ;   Parent Loop BB6_871 Depth=1
                                        ; =>  This Inner Loop Header: Depth=2
	v_dual_mov_b32 v10, s0 :: v_dual_mov_b32 v11, s1
	s_sleep 1
	global_store_b64 v[14:15], v[12:13], off
	global_wb scope:SCOPE_SYS
	s_wait_storecnt 0x0
	s_wait_xcnt 0x0
	global_atomic_cmpswap_b64 v[10:11], v5, v[10:13], s[2:3] offset:24 th:TH_ATOMIC_RETURN scope:SCOPE_SYS
	s_wait_loadcnt 0x0
	v_cmp_eq_u64_e32 vcc_lo, v[10:11], v[12:13]
	v_mov_b64_e32 v[12:13], v[10:11]
	s_or_b32 s10, vcc_lo, s10
	s_delay_alu instid0(SALU_CYCLE_1)
	s_and_not1_b32 exec_lo, exec_lo, s10
	s_cbranch_execnz .LBB6_952
	s_branch .LBB6_870
.LBB6_953:
	s_mov_b32 s0, 0
	s_branch .LBB6_955
.LBB6_954:
	s_mov_b32 s0, -1
.LBB6_955:
	s_delay_alu instid0(SALU_CYCLE_1)
	s_and_b32 vcc_lo, exec_lo, s0
	s_cbranch_vccz .LBB6_983
; %bb.956:
	v_readfirstlane_b32 s0, v32
	s_wait_loadcnt 0x0
	v_mov_b64_e32 v[10:11], 0
	s_delay_alu instid0(VALU_DEP_2)
	v_cmp_eq_u32_e64 s0, s0, v32
	s_and_saveexec_b32 s1, s0
	s_cbranch_execz .LBB6_962
; %bb.957:
	v_mov_b32_e32 v1, 0
	s_mov_b32 s4, exec_lo
	global_load_b64 v[6:7], v1, s[2:3] offset:24 scope:SCOPE_SYS
	s_wait_loadcnt 0x0
	global_inv scope:SCOPE_SYS
	s_clause 0x1
	global_load_b64 v[4:5], v1, s[2:3] offset:40
	global_load_b64 v[8:9], v1, s[2:3]
	s_wait_loadcnt 0x1
	v_and_b32_e32 v4, v4, v6
	v_and_b32_e32 v5, v5, v7
	s_delay_alu instid0(VALU_DEP_1) | instskip(SKIP_1) | instid1(VALU_DEP_1)
	v_mul_u64_e32 v[4:5], 24, v[4:5]
	s_wait_loadcnt 0x0
	v_add_nc_u64_e32 v[4:5], v[8:9], v[4:5]
	global_load_b64 v[4:5], v[4:5], off scope:SCOPE_SYS
	s_wait_xcnt 0x0
	s_wait_loadcnt 0x0
	global_atomic_cmpswap_b64 v[10:11], v1, v[4:7], s[2:3] offset:24 th:TH_ATOMIC_RETURN scope:SCOPE_SYS
	s_wait_loadcnt 0x0
	global_inv scope:SCOPE_SYS
	s_wait_xcnt 0x0
	v_cmpx_ne_u64_e64 v[10:11], v[6:7]
	s_cbranch_execz .LBB6_961
; %bb.958:
	s_mov_b32 s5, 0
.LBB6_959:                              ; =>This Inner Loop Header: Depth=1
	s_sleep 1
	s_clause 0x1
	global_load_b64 v[4:5], v1, s[2:3] offset:40
	global_load_b64 v[8:9], v1, s[2:3]
	v_mov_b64_e32 v[6:7], v[10:11]
	s_wait_loadcnt 0x1
	s_delay_alu instid0(VALU_DEP_1) | instskip(SKIP_1) | instid1(VALU_DEP_1)
	v_and_b32_e32 v4, v4, v6
	s_wait_loadcnt 0x0
	v_mad_nc_u64_u32 v[8:9], v4, 24, v[8:9]
	s_delay_alu instid0(VALU_DEP_3) | instskip(NEXT) | instid1(VALU_DEP_1)
	v_and_b32_e32 v4, v5, v7
	v_mad_u32 v9, v4, 24, v9
	global_load_b64 v[4:5], v[8:9], off scope:SCOPE_SYS
	s_wait_xcnt 0x0
	s_wait_loadcnt 0x0
	global_atomic_cmpswap_b64 v[10:11], v1, v[4:7], s[2:3] offset:24 th:TH_ATOMIC_RETURN scope:SCOPE_SYS
	s_wait_loadcnt 0x0
	global_inv scope:SCOPE_SYS
	v_cmp_eq_u64_e32 vcc_lo, v[10:11], v[6:7]
	s_or_b32 s5, vcc_lo, s5
	s_wait_xcnt 0x0
	s_and_not1_b32 exec_lo, exec_lo, s5
	s_cbranch_execnz .LBB6_959
; %bb.960:
	s_or_b32 exec_lo, exec_lo, s5
.LBB6_961:
	s_delay_alu instid0(SALU_CYCLE_1)
	s_or_b32 exec_lo, exec_lo, s4
.LBB6_962:
	s_delay_alu instid0(SALU_CYCLE_1)
	s_or_b32 exec_lo, exec_lo, s1
	v_readfirstlane_b32 s4, v10
	v_mov_b32_e32 v4, 0
	v_readfirstlane_b32 s5, v11
	s_mov_b32 s1, exec_lo
	s_clause 0x1
	global_load_b64 v[12:13], v4, s[2:3] offset:40
	global_load_b128 v[6:9], v4, s[2:3]
	s_wait_loadcnt 0x1
	v_and_b32_e32 v12, s4, v12
	v_and_b32_e32 v13, s5, v13
	s_delay_alu instid0(VALU_DEP_1) | instskip(SKIP_1) | instid1(VALU_DEP_1)
	v_mul_u64_e32 v[10:11], 24, v[12:13]
	s_wait_loadcnt 0x0
	v_add_nc_u64_e32 v[10:11], v[6:7], v[10:11]
	s_wait_xcnt 0x0
	s_and_saveexec_b32 s6, s0
	s_cbranch_execz .LBB6_964
; %bb.963:
	v_mov_b64_e32 v[16:17], 0x100000002
	v_dual_mov_b32 v14, s1 :: v_dual_mov_b32 v15, v4
	global_store_b128 v[10:11], v[14:17], off offset:8
.LBB6_964:
	s_wait_xcnt 0x0
	s_or_b32 exec_lo, exec_lo, s6
	v_lshlrev_b64_e32 v[12:13], 12, v[12:13]
	s_mov_b32 s8, 0
	v_and_or_b32 v2, 0xffffff1d, v2, 34
	s_mov_b32 s10, s8
	s_mov_b32 s11, s8
	;; [unrolled: 1-line block ×3, first 2 shown]
	v_mov_b32_e32 v5, v4
	v_add_nc_u64_e32 v[8:9], v[8:9], v[12:13]
	v_mov_b64_e32 v[14:15], s[10:11]
	v_mov_b64_e32 v[12:13], s[8:9]
	s_delay_alu instid0(VALU_DEP_3) | instskip(NEXT) | instid1(VALU_DEP_4)
	v_readfirstlane_b32 s6, v8
	v_readfirstlane_b32 s7, v9
	s_clause 0x3
	global_store_b128 v0, v[2:5], s[6:7]
	global_store_b128 v0, v[12:15], s[6:7] offset:16
	global_store_b128 v0, v[12:15], s[6:7] offset:32
	;; [unrolled: 1-line block ×3, first 2 shown]
	s_wait_xcnt 0x0
	s_and_saveexec_b32 s1, s0
	s_cbranch_execz .LBB6_972
; %bb.965:
	v_dual_mov_b32 v8, 0 :: v_dual_mov_b32 v13, s5
	s_mov_b32 s6, exec_lo
	s_clause 0x1
	global_load_b64 v[14:15], v8, s[2:3] offset:32 scope:SCOPE_SYS
	global_load_b64 v[0:1], v8, s[2:3] offset:40
	s_wait_loadcnt 0x0
	v_dual_mov_b32 v12, s4 :: v_dual_bitop2_b32 v1, s5, v1 bitop3:0x40
	v_and_b32_e32 v0, s4, v0
	s_delay_alu instid0(VALU_DEP_1) | instskip(NEXT) | instid1(VALU_DEP_1)
	v_mul_u64_e32 v[0:1], 24, v[0:1]
	v_add_nc_u64_e32 v[4:5], v[6:7], v[0:1]
	global_store_b64 v[4:5], v[14:15], off
	global_wb scope:SCOPE_SYS
	s_wait_storecnt 0x0
	s_wait_xcnt 0x0
	global_atomic_cmpswap_b64 v[2:3], v8, v[12:15], s[2:3] offset:32 th:TH_ATOMIC_RETURN scope:SCOPE_SYS
	s_wait_loadcnt 0x0
	v_cmpx_ne_u64_e64 v[2:3], v[14:15]
	s_cbranch_execz .LBB6_968
; %bb.966:
	s_mov_b32 s7, 0
.LBB6_967:                              ; =>This Inner Loop Header: Depth=1
	v_dual_mov_b32 v0, s4 :: v_dual_mov_b32 v1, s5
	s_sleep 1
	global_store_b64 v[4:5], v[2:3], off
	global_wb scope:SCOPE_SYS
	s_wait_storecnt 0x0
	s_wait_xcnt 0x0
	global_atomic_cmpswap_b64 v[0:1], v8, v[0:3], s[2:3] offset:32 th:TH_ATOMIC_RETURN scope:SCOPE_SYS
	s_wait_loadcnt 0x0
	v_cmp_eq_u64_e32 vcc_lo, v[0:1], v[2:3]
	v_mov_b64_e32 v[2:3], v[0:1]
	s_or_b32 s7, vcc_lo, s7
	s_delay_alu instid0(SALU_CYCLE_1)
	s_and_not1_b32 exec_lo, exec_lo, s7
	s_cbranch_execnz .LBB6_967
.LBB6_968:
	s_or_b32 exec_lo, exec_lo, s6
	v_mov_b32_e32 v3, 0
	s_mov_b32 s7, exec_lo
	s_mov_b32 s6, exec_lo
	v_mbcnt_lo_u32_b32 v2, s7, 0
	global_load_b64 v[0:1], v3, s[2:3] offset:16
	s_wait_xcnt 0x0
	v_cmpx_eq_u32_e32 0, v2
	s_cbranch_execz .LBB6_970
; %bb.969:
	s_bcnt1_i32_b32 s7, s7
	s_delay_alu instid0(SALU_CYCLE_1)
	v_mov_b32_e32 v2, s7
	global_wb scope:SCOPE_SYS
	s_wait_loadcnt 0x0
	s_wait_storecnt 0x0
	global_atomic_add_u64 v[0:1], v[2:3], off offset:8 scope:SCOPE_SYS
.LBB6_970:
	s_wait_xcnt 0x0
	s_or_b32 exec_lo, exec_lo, s6
	s_wait_loadcnt 0x0
	global_load_b64 v[2:3], v[0:1], off offset:16
	s_wait_loadcnt 0x0
	v_cmp_eq_u64_e32 vcc_lo, 0, v[2:3]
	s_cbranch_vccnz .LBB6_972
; %bb.971:
	global_load_b32 v0, v[0:1], off offset:24
	s_wait_xcnt 0x0
	v_mov_b32_e32 v1, 0
	s_wait_loadcnt 0x0
	v_readfirstlane_b32 s6, v0
	global_wb scope:SCOPE_SYS
	s_wait_storecnt 0x0
	global_store_b64 v[2:3], v[0:1], off scope:SCOPE_SYS
	s_and_b32 m0, s6, 0xffffff
	s_sendmsg sendmsg(MSG_INTERRUPT)
.LBB6_972:
	s_wait_xcnt 0x0
	s_or_b32 exec_lo, exec_lo, s1
	s_branch .LBB6_976
.LBB6_973:                              ;   in Loop: Header=BB6_976 Depth=1
	s_wait_xcnt 0x0
	s_or_b32 exec_lo, exec_lo, s1
	s_delay_alu instid0(VALU_DEP_1)
	v_readfirstlane_b32 s1, v0
	s_cmp_eq_u32 s1, 0
	s_cbranch_scc1 .LBB6_975
; %bb.974:                              ;   in Loop: Header=BB6_976 Depth=1
	s_sleep 1
	s_cbranch_execnz .LBB6_976
	s_branch .LBB6_978
.LBB6_975:
	s_branch .LBB6_978
.LBB6_976:                              ; =>This Inner Loop Header: Depth=1
	v_mov_b32_e32 v0, 1
	s_and_saveexec_b32 s1, s0
	s_cbranch_execz .LBB6_973
; %bb.977:                              ;   in Loop: Header=BB6_976 Depth=1
	global_load_b32 v0, v[10:11], off offset:20 scope:SCOPE_SYS
	s_wait_loadcnt 0x0
	global_inv scope:SCOPE_SYS
	v_and_b32_e32 v0, 1, v0
	s_branch .LBB6_973
.LBB6_978:
	s_and_saveexec_b32 s6, s0
	s_cbranch_execz .LBB6_982
; %bb.979:
	v_mov_b32_e32 v6, 0
	s_clause 0x2
	global_load_b64 v[0:1], v6, s[2:3] offset:40
	global_load_b64 v[10:11], v6, s[2:3] offset:24 scope:SCOPE_SYS
	global_load_b64 v[2:3], v6, s[2:3]
	s_wait_loadcnt 0x2
	v_readfirstlane_b32 s8, v0
	v_readfirstlane_b32 s9, v1
	s_add_nc_u64 s[0:1], s[8:9], 1
	s_delay_alu instid0(SALU_CYCLE_1) | instskip(NEXT) | instid1(SALU_CYCLE_1)
	s_add_nc_u64 s[4:5], s[0:1], s[4:5]
	s_cmp_eq_u64 s[4:5], 0
	s_cselect_b32 s1, s1, s5
	s_cselect_b32 s0, s0, s4
	v_mov_b32_e32 v9, s1
	s_and_b64 s[4:5], s[0:1], s[8:9]
	v_mov_b32_e32 v8, s0
	s_mul_u64 s[4:5], s[4:5], 24
	s_wait_loadcnt 0x0
	v_add_nc_u64_e32 v[4:5], s[4:5], v[2:3]
	global_store_b64 v[4:5], v[10:11], off
	global_wb scope:SCOPE_SYS
	s_wait_storecnt 0x0
	s_wait_xcnt 0x0
	global_atomic_cmpswap_b64 v[2:3], v6, v[8:11], s[2:3] offset:24 th:TH_ATOMIC_RETURN scope:SCOPE_SYS
	s_wait_loadcnt 0x0
	v_cmp_ne_u64_e32 vcc_lo, v[2:3], v[10:11]
	s_and_b32 exec_lo, exec_lo, vcc_lo
	s_cbranch_execz .LBB6_982
; %bb.980:
	s_mov_b32 s4, 0
.LBB6_981:                              ; =>This Inner Loop Header: Depth=1
	v_dual_mov_b32 v0, s0 :: v_dual_mov_b32 v1, s1
	s_sleep 1
	global_store_b64 v[4:5], v[2:3], off
	global_wb scope:SCOPE_SYS
	s_wait_storecnt 0x0
	s_wait_xcnt 0x0
	global_atomic_cmpswap_b64 v[0:1], v6, v[0:3], s[2:3] offset:24 th:TH_ATOMIC_RETURN scope:SCOPE_SYS
	s_wait_loadcnt 0x0
	v_cmp_eq_u64_e32 vcc_lo, v[0:1], v[2:3]
	v_mov_b64_e32 v[2:3], v[0:1]
	s_or_b32 s4, vcc_lo, s4
	s_delay_alu instid0(SALU_CYCLE_1)
	s_and_not1_b32 exec_lo, exec_lo, s4
	s_cbranch_execnz .LBB6_981
.LBB6_982:
	s_or_b32 exec_lo, exec_lo, s6
.LBB6_983:
	s_get_pc_i64 s[0:1]
	s_add_nc_u64 s[0:1], s[0:1], .str.29@rel64+4
	s_get_pc_i64 s[2:3]
	s_add_nc_u64 s[2:3], s[2:3], .str.19@rel64+4
	s_get_pc_i64 s[4:5]
	s_add_nc_u64 s[4:5], s[4:5], __PRETTY_FUNCTION__._ZN7VecsMemIjLi8192EE5fetchEi@rel64+4
	v_dual_mov_b32 v0, s0 :: v_dual_mov_b32 v1, s1
	s_wait_loadcnt 0x0
	v_dual_mov_b32 v2, s2 :: v_dual_mov_b32 v3, s3
	v_dual_mov_b32 v4, 12 :: v_dual_mov_b32 v5, s4
	v_mov_b32_e32 v6, s5
	s_get_pc_i64 s[6:7]
	s_add_nc_u64 s[6:7], s[6:7], __assert_fail@rel64+4
	s_mov_b64 s[8:9], s[52:53]
	s_swap_pc_i64 s[30:31], s[6:7]
	v_readlane_b32 s0, v73, 0
	s_or_b32 s0, s0, exec_lo
.LBB6_984:
	s_or_b32 exec_lo, exec_lo, s20
	v_readlane_b32 s1, v73, 0
	s_and_b32 s0, s0, exec_lo
	s_and_not1_b32 s1, s1, exec_lo
	s_delay_alu instid0(SALU_CYCLE_1)
	s_or_b32 s67, s1, s0
	s_or_not1_b32 s0, s19, exec_lo
.LBB6_985:
	s_or_b32 exec_lo, exec_lo, s18
	s_mov_b32 s1, 0
                                        ; implicit-def: $vgpr44
	s_and_saveexec_b32 s68, s0
	s_cbranch_execz .LBB6_1354
; %bb.986:
	v_mov_b64_e32 v[82:83], 0
	v_mov_b32_e32 v0, 0
	s_mov_b32 s0, -1
	s_mov_b32 s69, s67
	s_clause 0x1
	scratch_store_b64 off, v[70:71], s33 offset:72
	scratch_store_b32 off, v0, s33 offset:84
	s_wait_xcnt 0x0
	s_and_saveexec_b32 s18, s17
	s_cbranch_execz .LBB6_1133
; %bb.987:
	flat_load_b32 v0, v[60:61]
	v_mov_b64_e32 v[82:83], 0
	s_mov_b32 s17, 0
	s_mov_b32 s0, exec_lo
	s_wait_loadcnt_dscnt 0x0
	v_add_nc_u32_e32 v0, v0, v80
	s_wait_xcnt 0x0
	s_delay_alu instid0(VALU_DEP_1)
	v_cmpx_gt_i32_e32 0x2001, v0
	s_xor_b32 s0, exec_lo, s0
	s_cbranch_execz .LBB6_989
; %bb.988:
	v_dual_mov_b32 v81, 0 :: v_dual_ashrrev_i32 v1, 31, v0
	s_mov_b32 s17, exec_lo
	flat_store_b32 v[60:61], v0
	v_lshlrev_b64_e32 v[2:3], 2, v[80:81]
	v_lshl_add_u64 v[4:5], v[0:1], 2, v[60:61]
	s_delay_alu instid0(VALU_DEP_1) | instskip(NEXT) | instid1(VALU_DEP_1)
	v_sub_nc_u64_e32 v[2:3], v[4:5], v[2:3]
	v_add_nc_u64_e32 v[82:83], 4, v[2:3]
.LBB6_989:
	s_wait_xcnt 0x0
	s_or_saveexec_b32 s19, s0
	s_mov_b32 s0, s67
	s_xor_b32 exec_lo, exec_lo, s19
	s_cbranch_execz .LBB6_1132
; %bb.990:
	s_load_b64 s[2:3], s[52:53], 0x50
	v_mbcnt_lo_u32_b32 v32, -1, 0
	v_mov_b64_e32 v[2:3], 0
	s_delay_alu instid0(VALU_DEP_2) | instskip(NEXT) | instid1(VALU_DEP_1)
	v_readfirstlane_b32 s0, v32
	v_cmp_eq_u32_e64 s0, s0, v32
	s_and_saveexec_b32 s1, s0
	s_cbranch_execz .LBB6_996
; %bb.991:
	v_mov_b32_e32 v0, 0
	s_mov_b32 s4, exec_lo
	s_wait_kmcnt 0x0
	global_load_b64 v[4:5], v0, s[2:3] offset:24 scope:SCOPE_SYS
	s_wait_loadcnt 0x0
	global_inv scope:SCOPE_SYS
	s_clause 0x1
	global_load_b64 v[2:3], v0, s[2:3] offset:40
	global_load_b64 v[6:7], v0, s[2:3]
	s_wait_loadcnt 0x1
	v_and_b32_e32 v2, v2, v4
	v_and_b32_e32 v3, v3, v5
	s_delay_alu instid0(VALU_DEP_1) | instskip(SKIP_1) | instid1(VALU_DEP_1)
	v_mul_u64_e32 v[2:3], 24, v[2:3]
	s_wait_loadcnt 0x0
	v_add_nc_u64_e32 v[2:3], v[6:7], v[2:3]
	global_load_b64 v[2:3], v[2:3], off scope:SCOPE_SYS
	s_wait_xcnt 0x0
	s_wait_loadcnt 0x0
	global_atomic_cmpswap_b64 v[2:3], v0, v[2:5], s[2:3] offset:24 th:TH_ATOMIC_RETURN scope:SCOPE_SYS
	s_wait_loadcnt 0x0
	global_inv scope:SCOPE_SYS
	s_wait_xcnt 0x0
	v_cmpx_ne_u64_e64 v[2:3], v[4:5]
	s_cbranch_execz .LBB6_995
; %bb.992:
	s_mov_b32 s5, 0
.LBB6_993:                              ; =>This Inner Loop Header: Depth=1
	s_sleep 1
	s_clause 0x1
	global_load_b64 v[6:7], v0, s[2:3] offset:40
	global_load_b64 v[8:9], v0, s[2:3]
	v_mov_b64_e32 v[4:5], v[2:3]
	s_wait_loadcnt 0x1
	s_delay_alu instid0(VALU_DEP_1) | instskip(SKIP_1) | instid1(VALU_DEP_1)
	v_and_b32_e32 v1, v6, v4
	s_wait_loadcnt 0x0
	v_mad_nc_u64_u32 v[2:3], v1, 24, v[8:9]
	s_delay_alu instid0(VALU_DEP_3) | instskip(NEXT) | instid1(VALU_DEP_1)
	v_and_b32_e32 v1, v7, v5
	v_mad_u32 v3, v1, 24, v3
	global_load_b64 v[2:3], v[2:3], off scope:SCOPE_SYS
	s_wait_xcnt 0x0
	s_wait_loadcnt 0x0
	global_atomic_cmpswap_b64 v[2:3], v0, v[2:5], s[2:3] offset:24 th:TH_ATOMIC_RETURN scope:SCOPE_SYS
	s_wait_loadcnt 0x0
	global_inv scope:SCOPE_SYS
	v_cmp_eq_u64_e32 vcc_lo, v[2:3], v[4:5]
	s_or_b32 s5, vcc_lo, s5
	s_wait_xcnt 0x0
	s_and_not1_b32 exec_lo, exec_lo, s5
	s_cbranch_execnz .LBB6_993
; %bb.994:
	s_or_b32 exec_lo, exec_lo, s5
.LBB6_995:
	s_delay_alu instid0(SALU_CYCLE_1)
	s_or_b32 exec_lo, exec_lo, s4
.LBB6_996:
	s_delay_alu instid0(SALU_CYCLE_1)
	s_or_b32 exec_lo, exec_lo, s1
	v_readfirstlane_b32 s4, v2
	v_mov_b32_e32 v1, 0
	v_readfirstlane_b32 s5, v3
	s_mov_b32 s1, exec_lo
	s_wait_kmcnt 0x0
	s_clause 0x1
	global_load_b64 v[8:9], v1, s[2:3] offset:40
	global_load_b128 v[4:7], v1, s[2:3]
	s_wait_loadcnt 0x1
	v_and_b32_e32 v10, s4, v8
	v_and_b32_e32 v11, s5, v9
	s_delay_alu instid0(VALU_DEP_1) | instskip(SKIP_1) | instid1(VALU_DEP_1)
	v_mul_u64_e32 v[2:3], 24, v[10:11]
	s_wait_loadcnt 0x0
	v_add_nc_u64_e32 v[8:9], v[4:5], v[2:3]
	s_wait_xcnt 0x0
	s_and_saveexec_b32 s6, s0
	s_cbranch_execz .LBB6_998
; %bb.997:
	v_mov_b64_e32 v[2:3], 0x100000002
	v_mov_b32_e32 v0, s1
	global_store_b128 v[8:9], v[0:3], off offset:8
.LBB6_998:
	s_wait_xcnt 0x0
	s_or_b32 exec_lo, exec_lo, s6
	v_lshlrev_b64_e32 v[2:3], 12, v[10:11]
	s_mov_b32 s8, 0
	v_dual_lshlrev_b32 v0, 6, v32 :: v_dual_mov_b32 v10, 33
	s_mov_b32 s10, s8
	s_mov_b32 s11, s8
	;; [unrolled: 1-line block ×3, first 2 shown]
	s_delay_alu instid0(VALU_DEP_2)
	v_add_nc_u64_e32 v[6:7], v[6:7], v[2:3]
	v_mov_b64_e32 v[16:17], s[10:11]
	v_mov_b64_e32 v[14:15], s[8:9]
	v_dual_mov_b32 v11, v1 :: v_dual_mov_b32 v12, v1
	v_mov_b32_e32 v13, v1
	v_readfirstlane_b32 s6, v6
	v_readfirstlane_b32 s7, v7
	s_clause 0x3
	global_store_b128 v0, v[10:13], s[6:7]
	global_store_b128 v0, v[14:17], s[6:7] offset:16
	global_store_b128 v0, v[14:17], s[6:7] offset:32
	;; [unrolled: 1-line block ×3, first 2 shown]
	s_wait_xcnt 0x0
	s_and_saveexec_b32 s1, s0
	s_cbranch_execz .LBB6_1006
; %bb.999:
	v_dual_mov_b32 v12, 0 :: v_dual_mov_b32 v15, s5
	s_mov_b32 s6, exec_lo
	s_clause 0x1
	global_load_b64 v[16:17], v12, s[2:3] offset:32 scope:SCOPE_SYS
	global_load_b64 v[2:3], v12, s[2:3] offset:40
	s_wait_loadcnt 0x0
	v_dual_mov_b32 v14, s4 :: v_dual_bitop2_b32 v3, s5, v3 bitop3:0x40
	v_and_b32_e32 v2, s4, v2
	s_delay_alu instid0(VALU_DEP_1) | instskip(NEXT) | instid1(VALU_DEP_1)
	v_mul_u64_e32 v[2:3], 24, v[2:3]
	v_add_nc_u64_e32 v[10:11], v[4:5], v[2:3]
	global_store_b64 v[10:11], v[16:17], off
	global_wb scope:SCOPE_SYS
	s_wait_storecnt 0x0
	s_wait_xcnt 0x0
	global_atomic_cmpswap_b64 v[4:5], v12, v[14:17], s[2:3] offset:32 th:TH_ATOMIC_RETURN scope:SCOPE_SYS
	s_wait_loadcnt 0x0
	v_cmpx_ne_u64_e64 v[4:5], v[16:17]
	s_cbranch_execz .LBB6_1002
; %bb.1000:
	s_mov_b32 s7, 0
.LBB6_1001:                             ; =>This Inner Loop Header: Depth=1
	v_dual_mov_b32 v2, s4 :: v_dual_mov_b32 v3, s5
	s_sleep 1
	global_store_b64 v[10:11], v[4:5], off
	global_wb scope:SCOPE_SYS
	s_wait_storecnt 0x0
	s_wait_xcnt 0x0
	global_atomic_cmpswap_b64 v[2:3], v12, v[2:5], s[2:3] offset:32 th:TH_ATOMIC_RETURN scope:SCOPE_SYS
	s_wait_loadcnt 0x0
	v_cmp_eq_u64_e32 vcc_lo, v[2:3], v[4:5]
	v_mov_b64_e32 v[4:5], v[2:3]
	s_or_b32 s7, vcc_lo, s7
	s_delay_alu instid0(SALU_CYCLE_1)
	s_and_not1_b32 exec_lo, exec_lo, s7
	s_cbranch_execnz .LBB6_1001
.LBB6_1002:
	s_or_b32 exec_lo, exec_lo, s6
	v_mov_b32_e32 v5, 0
	s_mov_b32 s7, exec_lo
	s_mov_b32 s6, exec_lo
	v_mbcnt_lo_u32_b32 v4, s7, 0
	global_load_b64 v[2:3], v5, s[2:3] offset:16
	s_wait_xcnt 0x0
	v_cmpx_eq_u32_e32 0, v4
	s_cbranch_execz .LBB6_1004
; %bb.1003:
	s_bcnt1_i32_b32 s7, s7
	s_delay_alu instid0(SALU_CYCLE_1)
	v_mov_b32_e32 v4, s7
	global_wb scope:SCOPE_SYS
	s_wait_loadcnt 0x0
	s_wait_storecnt 0x0
	global_atomic_add_u64 v[2:3], v[4:5], off offset:8 scope:SCOPE_SYS
.LBB6_1004:
	s_wait_xcnt 0x0
	s_or_b32 exec_lo, exec_lo, s6
	s_wait_loadcnt 0x0
	global_load_b64 v[4:5], v[2:3], off offset:16
	s_wait_loadcnt 0x0
	v_cmp_eq_u64_e32 vcc_lo, 0, v[4:5]
	s_cbranch_vccnz .LBB6_1006
; %bb.1005:
	global_load_b32 v2, v[2:3], off offset:24
	s_wait_xcnt 0x0
	v_mov_b32_e32 v3, 0
	s_wait_loadcnt 0x0
	v_readfirstlane_b32 s6, v2
	global_wb scope:SCOPE_SYS
	s_wait_storecnt 0x0
	global_store_b64 v[4:5], v[2:3], off scope:SCOPE_SYS
	s_and_b32 m0, s6, 0xffffff
	s_sendmsg sendmsg(MSG_INTERRUPT)
.LBB6_1006:
	s_wait_xcnt 0x0
	s_or_b32 exec_lo, exec_lo, s1
	v_add_nc_u64_e32 v[2:3], v[6:7], v[0:1]
	s_branch .LBB6_1010
.LBB6_1007:                             ;   in Loop: Header=BB6_1010 Depth=1
	s_wait_xcnt 0x0
	s_or_b32 exec_lo, exec_lo, s1
	s_delay_alu instid0(VALU_DEP_1)
	v_readfirstlane_b32 s1, v1
	s_cmp_eq_u32 s1, 0
	s_cbranch_scc1 .LBB6_1009
; %bb.1008:                             ;   in Loop: Header=BB6_1010 Depth=1
	s_sleep 1
	s_cbranch_execnz .LBB6_1010
	s_branch .LBB6_1012
.LBB6_1009:
	s_branch .LBB6_1012
.LBB6_1010:                             ; =>This Inner Loop Header: Depth=1
	v_mov_b32_e32 v1, 1
	s_and_saveexec_b32 s1, s0
	s_cbranch_execz .LBB6_1007
; %bb.1011:                             ;   in Loop: Header=BB6_1010 Depth=1
	global_load_b32 v1, v[8:9], off offset:20 scope:SCOPE_SYS
	s_wait_loadcnt 0x0
	global_inv scope:SCOPE_SYS
	v_and_b32_e32 v1, 1, v1
	s_branch .LBB6_1007
.LBB6_1012:
	global_load_b64 v[2:3], v[2:3], off
	s_wait_xcnt 0x0
	s_and_saveexec_b32 s6, s0
	s_cbranch_execz .LBB6_1016
; %bb.1013:
	v_mov_b32_e32 v1, 0
	s_clause 0x2
	global_load_b64 v[4:5], v1, s[2:3] offset:40
	global_load_b64 v[12:13], v1, s[2:3] offset:24 scope:SCOPE_SYS
	global_load_b64 v[6:7], v1, s[2:3]
	s_wait_loadcnt 0x2
	v_readfirstlane_b32 s8, v4
	v_readfirstlane_b32 s9, v5
	s_add_nc_u64 s[0:1], s[8:9], 1
	s_delay_alu instid0(SALU_CYCLE_1) | instskip(NEXT) | instid1(SALU_CYCLE_1)
	s_add_nc_u64 s[4:5], s[0:1], s[4:5]
	s_cmp_eq_u64 s[4:5], 0
	s_cselect_b32 s1, s1, s5
	s_cselect_b32 s0, s0, s4
	v_mov_b32_e32 v11, s1
	s_and_b64 s[4:5], s[0:1], s[8:9]
	v_mov_b32_e32 v10, s0
	s_mul_u64 s[4:5], s[4:5], 24
	s_wait_loadcnt 0x0
	v_add_nc_u64_e32 v[8:9], s[4:5], v[6:7]
	global_store_b64 v[8:9], v[12:13], off
	global_wb scope:SCOPE_SYS
	s_wait_storecnt 0x0
	s_wait_xcnt 0x0
	global_atomic_cmpswap_b64 v[6:7], v1, v[10:13], s[2:3] offset:24 th:TH_ATOMIC_RETURN scope:SCOPE_SYS
	s_wait_loadcnt 0x0
	v_cmp_ne_u64_e32 vcc_lo, v[6:7], v[12:13]
	s_and_b32 exec_lo, exec_lo, vcc_lo
	s_cbranch_execz .LBB6_1016
; %bb.1014:
	s_mov_b32 s4, 0
.LBB6_1015:                             ; =>This Inner Loop Header: Depth=1
	v_dual_mov_b32 v4, s0 :: v_dual_mov_b32 v5, s1
	s_sleep 1
	global_store_b64 v[8:9], v[6:7], off
	global_wb scope:SCOPE_SYS
	s_wait_storecnt 0x0
	s_wait_xcnt 0x0
	global_atomic_cmpswap_b64 v[4:5], v1, v[4:7], s[2:3] offset:24 th:TH_ATOMIC_RETURN scope:SCOPE_SYS
	s_wait_loadcnt 0x0
	v_cmp_eq_u64_e32 vcc_lo, v[4:5], v[6:7]
	v_mov_b64_e32 v[6:7], v[4:5]
	s_or_b32 s4, vcc_lo, s4
	s_delay_alu instid0(SALU_CYCLE_1)
	s_and_not1_b32 exec_lo, exec_lo, s4
	s_cbranch_execnz .LBB6_1015
.LBB6_1016:
	s_or_b32 exec_lo, exec_lo, s6
	s_get_pc_i64 s[4:5]
	s_add_nc_u64 s[4:5], s[4:5], .str.28@rel64+4
	s_delay_alu instid0(SALU_CYCLE_1)
	s_cmp_lg_u64 s[4:5], 0
	s_cbranch_scc0 .LBB6_1102
; %bb.1017:
	v_mov_b64_e32 v[6:7], 0x100000002
	s_wait_loadcnt 0x0
	v_dual_mov_b32 v9, v3 :: v_dual_bitop2_b32 v8, -3, v2 bitop3:0x40
	v_mov_b32_e32 v5, 0
	s_mov_b64 s[6:7], 35
	s_branch .LBB6_1019
.LBB6_1018:                             ;   in Loop: Header=BB6_1019 Depth=1
	s_or_b32 exec_lo, exec_lo, s12
	s_sub_nc_u64 s[6:7], s[6:7], s[8:9]
	s_add_nc_u64 s[4:5], s[4:5], s[8:9]
	s_cmp_lg_u64 s[6:7], 0
	s_cbranch_scc0 .LBB6_1101
.LBB6_1019:                             ; =>This Loop Header: Depth=1
                                        ;     Child Loop BB6_1022 Depth 2
                                        ;     Child Loop BB6_1030 Depth 2
                                        ;     Child Loop BB6_1038 Depth 2
                                        ;     Child Loop BB6_1046 Depth 2
                                        ;     Child Loop BB6_1054 Depth 2
                                        ;     Child Loop BB6_1062 Depth 2
                                        ;     Child Loop BB6_1070 Depth 2
                                        ;     Child Loop BB6_1078 Depth 2
                                        ;     Child Loop BB6_1086 Depth 2
                                        ;     Child Loop BB6_1095 Depth 2
                                        ;     Child Loop BB6_1100 Depth 2
	s_wait_loadcnt 0x0
	v_min_u64 v[10:11], s[6:7], 56
	v_cmp_gt_u64_e64 s0, s[6:7], 7
	s_and_b32 vcc_lo, exec_lo, s0
	v_readfirstlane_b32 s8, v10
	v_readfirstlane_b32 s9, v11
	s_cbranch_vccnz .LBB6_1024
; %bb.1020:                             ;   in Loop: Header=BB6_1019 Depth=1
	v_mov_b64_e32 v[10:11], 0
	s_cmp_eq_u64 s[6:7], 0
	s_cbranch_scc1 .LBB6_1023
; %bb.1021:                             ;   in Loop: Header=BB6_1019 Depth=1
	s_mov_b64 s[0:1], 0
	s_mov_b64 s[10:11], 0
.LBB6_1022:                             ;   Parent Loop BB6_1019 Depth=1
                                        ; =>  This Inner Loop Header: Depth=2
	s_wait_xcnt 0x0
	s_add_nc_u64 s[12:13], s[4:5], s[10:11]
	s_add_nc_u64 s[10:11], s[10:11], 1
	global_load_u8 v1, v5, s[12:13]
	s_cmp_lg_u32 s8, s10
	s_wait_loadcnt 0x0
	v_and_b32_e32 v4, 0xffff, v1
	s_delay_alu instid0(VALU_DEP_1) | instskip(SKIP_1) | instid1(VALU_DEP_1)
	v_lshlrev_b64_e32 v[12:13], s0, v[4:5]
	s_add_nc_u64 s[0:1], s[0:1], 8
	v_or_b32_e32 v10, v12, v10
	s_delay_alu instid0(VALU_DEP_2)
	v_or_b32_e32 v11, v13, v11
	s_cbranch_scc1 .LBB6_1022
.LBB6_1023:                             ;   in Loop: Header=BB6_1019 Depth=1
	s_mov_b32 s0, 0
	s_mov_b64 s[10:11], s[4:5]
	s_branch .LBB6_1025
.LBB6_1024:                             ;   in Loop: Header=BB6_1019 Depth=1
	s_add_nc_u64 s[10:11], s[4:5], 8
	s_mov_b32 s0, -1
.LBB6_1025:                             ;   in Loop: Header=BB6_1019 Depth=1
	s_delay_alu instid0(SALU_CYCLE_1)
	s_and_not1_b32 vcc_lo, exec_lo, s0
	s_mov_b32 s14, 0
	s_cbranch_vccnz .LBB6_1027
; %bb.1026:                             ;   in Loop: Header=BB6_1019 Depth=1
	global_load_b64 v[10:11], v5, s[4:5]
	s_add_co_i32 s14, s8, -8
.LBB6_1027:                             ;   in Loop: Header=BB6_1019 Depth=1
	s_delay_alu instid0(SALU_CYCLE_1)
	s_cmp_gt_u32 s14, 7
	s_cbranch_scc1 .LBB6_1032
; %bb.1028:                             ;   in Loop: Header=BB6_1019 Depth=1
	v_mov_b64_e32 v[12:13], 0
	s_cmp_eq_u32 s14, 0
	s_cbranch_scc1 .LBB6_1031
; %bb.1029:                             ;   in Loop: Header=BB6_1019 Depth=1
	s_mov_b64 s[0:1], 0
	s_wait_xcnt 0x0
	s_mov_b64 s[12:13], 0
.LBB6_1030:                             ;   Parent Loop BB6_1019 Depth=1
                                        ; =>  This Inner Loop Header: Depth=2
	s_wait_xcnt 0x0
	s_add_nc_u64 s[20:21], s[10:11], s[12:13]
	s_add_nc_u64 s[12:13], s[12:13], 1
	global_load_u8 v1, v5, s[20:21]
	s_cmp_lg_u32 s14, s12
	s_wait_loadcnt 0x0
	v_and_b32_e32 v4, 0xffff, v1
	s_delay_alu instid0(VALU_DEP_1) | instskip(SKIP_1) | instid1(VALU_DEP_1)
	v_lshlrev_b64_e32 v[14:15], s0, v[4:5]
	s_add_nc_u64 s[0:1], s[0:1], 8
	v_or_b32_e32 v12, v14, v12
	s_delay_alu instid0(VALU_DEP_2)
	v_or_b32_e32 v13, v15, v13
	s_cbranch_scc1 .LBB6_1030
.LBB6_1031:                             ;   in Loop: Header=BB6_1019 Depth=1
	s_wait_xcnt 0x0
	s_mov_b32 s12, 0
	s_mov_b64 s[0:1], s[10:11]
	s_branch .LBB6_1033
.LBB6_1032:                             ;   in Loop: Header=BB6_1019 Depth=1
	s_add_nc_u64 s[0:1], s[10:11], 8
	s_wait_xcnt 0x0
	s_mov_b32 s12, -1
                                        ; implicit-def: $vgpr12_vgpr13
.LBB6_1033:                             ;   in Loop: Header=BB6_1019 Depth=1
	s_delay_alu instid0(SALU_CYCLE_1)
	s_and_not1_b32 vcc_lo, exec_lo, s12
	s_mov_b32 s15, 0
	s_cbranch_vccnz .LBB6_1035
; %bb.1034:                             ;   in Loop: Header=BB6_1019 Depth=1
	global_load_b64 v[12:13], v5, s[10:11]
	s_add_co_i32 s15, s14, -8
.LBB6_1035:                             ;   in Loop: Header=BB6_1019 Depth=1
	s_delay_alu instid0(SALU_CYCLE_1)
	s_cmp_gt_u32 s15, 7
	s_cbranch_scc1 .LBB6_1040
; %bb.1036:                             ;   in Loop: Header=BB6_1019 Depth=1
	v_mov_b64_e32 v[14:15], 0
	s_cmp_eq_u32 s15, 0
	s_cbranch_scc1 .LBB6_1039
; %bb.1037:                             ;   in Loop: Header=BB6_1019 Depth=1
	s_wait_xcnt 0x0
	s_mov_b64 s[10:11], 0
	s_mov_b64 s[12:13], 0
.LBB6_1038:                             ;   Parent Loop BB6_1019 Depth=1
                                        ; =>  This Inner Loop Header: Depth=2
	s_wait_xcnt 0x0
	s_add_nc_u64 s[20:21], s[0:1], s[12:13]
	s_add_nc_u64 s[12:13], s[12:13], 1
	global_load_u8 v1, v5, s[20:21]
	s_cmp_lg_u32 s15, s12
	s_wait_loadcnt 0x0
	v_and_b32_e32 v4, 0xffff, v1
	s_delay_alu instid0(VALU_DEP_1) | instskip(SKIP_1) | instid1(VALU_DEP_1)
	v_lshlrev_b64_e32 v[16:17], s10, v[4:5]
	s_add_nc_u64 s[10:11], s[10:11], 8
	v_or_b32_e32 v14, v16, v14
	s_delay_alu instid0(VALU_DEP_2)
	v_or_b32_e32 v15, v17, v15
	s_cbranch_scc1 .LBB6_1038
.LBB6_1039:                             ;   in Loop: Header=BB6_1019 Depth=1
	s_mov_b32 s12, 0
	s_wait_xcnt 0x0
	s_mov_b64 s[10:11], s[0:1]
	s_branch .LBB6_1041
.LBB6_1040:                             ;   in Loop: Header=BB6_1019 Depth=1
	s_wait_xcnt 0x0
	s_add_nc_u64 s[10:11], s[0:1], 8
	s_mov_b32 s12, -1
.LBB6_1041:                             ;   in Loop: Header=BB6_1019 Depth=1
	s_delay_alu instid0(SALU_CYCLE_1)
	s_and_not1_b32 vcc_lo, exec_lo, s12
	s_mov_b32 s14, 0
	s_cbranch_vccnz .LBB6_1043
; %bb.1042:                             ;   in Loop: Header=BB6_1019 Depth=1
	global_load_b64 v[14:15], v5, s[0:1]
	s_add_co_i32 s14, s15, -8
.LBB6_1043:                             ;   in Loop: Header=BB6_1019 Depth=1
	s_delay_alu instid0(SALU_CYCLE_1)
	s_cmp_gt_u32 s14, 7
	s_cbranch_scc1 .LBB6_1048
; %bb.1044:                             ;   in Loop: Header=BB6_1019 Depth=1
	v_mov_b64_e32 v[16:17], 0
	s_cmp_eq_u32 s14, 0
	s_cbranch_scc1 .LBB6_1047
; %bb.1045:                             ;   in Loop: Header=BB6_1019 Depth=1
	s_wait_xcnt 0x0
	s_mov_b64 s[0:1], 0
	s_mov_b64 s[12:13], 0
.LBB6_1046:                             ;   Parent Loop BB6_1019 Depth=1
                                        ; =>  This Inner Loop Header: Depth=2
	s_wait_xcnt 0x0
	s_add_nc_u64 s[20:21], s[10:11], s[12:13]
	s_add_nc_u64 s[12:13], s[12:13], 1
	global_load_u8 v1, v5, s[20:21]
	s_cmp_lg_u32 s14, s12
	s_wait_loadcnt 0x0
	v_and_b32_e32 v4, 0xffff, v1
	s_delay_alu instid0(VALU_DEP_1) | instskip(SKIP_1) | instid1(VALU_DEP_1)
	v_lshlrev_b64_e32 v[18:19], s0, v[4:5]
	s_add_nc_u64 s[0:1], s[0:1], 8
	v_or_b32_e32 v16, v18, v16
	s_delay_alu instid0(VALU_DEP_2)
	v_or_b32_e32 v17, v19, v17
	s_cbranch_scc1 .LBB6_1046
.LBB6_1047:                             ;   in Loop: Header=BB6_1019 Depth=1
	s_mov_b32 s12, 0
	s_wait_xcnt 0x0
	s_mov_b64 s[0:1], s[10:11]
	s_branch .LBB6_1049
.LBB6_1048:                             ;   in Loop: Header=BB6_1019 Depth=1
	s_wait_xcnt 0x0
	s_add_nc_u64 s[0:1], s[10:11], 8
	s_mov_b32 s12, -1
                                        ; implicit-def: $vgpr16_vgpr17
.LBB6_1049:                             ;   in Loop: Header=BB6_1019 Depth=1
	s_delay_alu instid0(SALU_CYCLE_1)
	s_and_not1_b32 vcc_lo, exec_lo, s12
	s_mov_b32 s15, 0
	s_cbranch_vccnz .LBB6_1051
; %bb.1050:                             ;   in Loop: Header=BB6_1019 Depth=1
	global_load_b64 v[16:17], v5, s[10:11]
	s_add_co_i32 s15, s14, -8
.LBB6_1051:                             ;   in Loop: Header=BB6_1019 Depth=1
	s_delay_alu instid0(SALU_CYCLE_1)
	s_cmp_gt_u32 s15, 7
	s_cbranch_scc1 .LBB6_1056
; %bb.1052:                             ;   in Loop: Header=BB6_1019 Depth=1
	v_mov_b64_e32 v[18:19], 0
	s_cmp_eq_u32 s15, 0
	s_cbranch_scc1 .LBB6_1055
; %bb.1053:                             ;   in Loop: Header=BB6_1019 Depth=1
	s_wait_xcnt 0x0
	s_mov_b64 s[10:11], 0
	s_mov_b64 s[12:13], 0
.LBB6_1054:                             ;   Parent Loop BB6_1019 Depth=1
                                        ; =>  This Inner Loop Header: Depth=2
	s_wait_xcnt 0x0
	s_add_nc_u64 s[20:21], s[0:1], s[12:13]
	s_add_nc_u64 s[12:13], s[12:13], 1
	global_load_u8 v1, v5, s[20:21]
	s_cmp_lg_u32 s15, s12
	s_wait_loadcnt 0x0
	v_and_b32_e32 v4, 0xffff, v1
	s_delay_alu instid0(VALU_DEP_1) | instskip(SKIP_1) | instid1(VALU_DEP_1)
	v_lshlrev_b64_e32 v[20:21], s10, v[4:5]
	s_add_nc_u64 s[10:11], s[10:11], 8
	v_or_b32_e32 v18, v20, v18
	s_delay_alu instid0(VALU_DEP_2)
	v_or_b32_e32 v19, v21, v19
	s_cbranch_scc1 .LBB6_1054
.LBB6_1055:                             ;   in Loop: Header=BB6_1019 Depth=1
	s_mov_b32 s12, 0
	s_wait_xcnt 0x0
	s_mov_b64 s[10:11], s[0:1]
	s_branch .LBB6_1057
.LBB6_1056:                             ;   in Loop: Header=BB6_1019 Depth=1
	s_wait_xcnt 0x0
	s_add_nc_u64 s[10:11], s[0:1], 8
	s_mov_b32 s12, -1
.LBB6_1057:                             ;   in Loop: Header=BB6_1019 Depth=1
	s_delay_alu instid0(SALU_CYCLE_1)
	s_and_not1_b32 vcc_lo, exec_lo, s12
	s_mov_b32 s14, 0
	s_cbranch_vccnz .LBB6_1059
; %bb.1058:                             ;   in Loop: Header=BB6_1019 Depth=1
	global_load_b64 v[18:19], v5, s[0:1]
	s_add_co_i32 s14, s15, -8
.LBB6_1059:                             ;   in Loop: Header=BB6_1019 Depth=1
	s_delay_alu instid0(SALU_CYCLE_1)
	s_cmp_gt_u32 s14, 7
	s_cbranch_scc1 .LBB6_1064
; %bb.1060:                             ;   in Loop: Header=BB6_1019 Depth=1
	v_mov_b64_e32 v[20:21], 0
	s_cmp_eq_u32 s14, 0
	s_cbranch_scc1 .LBB6_1063
; %bb.1061:                             ;   in Loop: Header=BB6_1019 Depth=1
	s_wait_xcnt 0x0
	s_mov_b64 s[0:1], 0
	s_mov_b64 s[12:13], 0
.LBB6_1062:                             ;   Parent Loop BB6_1019 Depth=1
                                        ; =>  This Inner Loop Header: Depth=2
	s_wait_xcnt 0x0
	s_add_nc_u64 s[20:21], s[10:11], s[12:13]
	s_add_nc_u64 s[12:13], s[12:13], 1
	global_load_u8 v1, v5, s[20:21]
	s_cmp_lg_u32 s14, s12
	s_wait_loadcnt 0x0
	v_and_b32_e32 v4, 0xffff, v1
	s_delay_alu instid0(VALU_DEP_1) | instskip(SKIP_1) | instid1(VALU_DEP_1)
	v_lshlrev_b64_e32 v[22:23], s0, v[4:5]
	s_add_nc_u64 s[0:1], s[0:1], 8
	v_or_b32_e32 v20, v22, v20
	s_delay_alu instid0(VALU_DEP_2)
	v_or_b32_e32 v21, v23, v21
	s_cbranch_scc1 .LBB6_1062
.LBB6_1063:                             ;   in Loop: Header=BB6_1019 Depth=1
	s_mov_b32 s12, 0
	s_wait_xcnt 0x0
	s_mov_b64 s[0:1], s[10:11]
	s_branch .LBB6_1065
.LBB6_1064:                             ;   in Loop: Header=BB6_1019 Depth=1
	s_wait_xcnt 0x0
	s_add_nc_u64 s[0:1], s[10:11], 8
	s_mov_b32 s12, -1
                                        ; implicit-def: $vgpr20_vgpr21
.LBB6_1065:                             ;   in Loop: Header=BB6_1019 Depth=1
	s_delay_alu instid0(SALU_CYCLE_1)
	s_and_not1_b32 vcc_lo, exec_lo, s12
	s_mov_b32 s15, 0
	s_cbranch_vccnz .LBB6_1067
; %bb.1066:                             ;   in Loop: Header=BB6_1019 Depth=1
	global_load_b64 v[20:21], v5, s[10:11]
	s_add_co_i32 s15, s14, -8
.LBB6_1067:                             ;   in Loop: Header=BB6_1019 Depth=1
	s_delay_alu instid0(SALU_CYCLE_1)
	s_cmp_gt_u32 s15, 7
	s_cbranch_scc1 .LBB6_1072
; %bb.1068:                             ;   in Loop: Header=BB6_1019 Depth=1
	v_mov_b64_e32 v[22:23], 0
	s_cmp_eq_u32 s15, 0
	s_cbranch_scc1 .LBB6_1071
; %bb.1069:                             ;   in Loop: Header=BB6_1019 Depth=1
	s_wait_xcnt 0x0
	s_mov_b64 s[10:11], 0
	s_mov_b64 s[12:13], s[0:1]
.LBB6_1070:                             ;   Parent Loop BB6_1019 Depth=1
                                        ; =>  This Inner Loop Header: Depth=2
	global_load_u8 v1, v5, s[12:13]
	s_add_co_i32 s15, s15, -1
	s_wait_xcnt 0x0
	s_add_nc_u64 s[12:13], s[12:13], 1
	s_cmp_lg_u32 s15, 0
	s_wait_loadcnt 0x0
	v_and_b32_e32 v4, 0xffff, v1
	s_delay_alu instid0(VALU_DEP_1) | instskip(SKIP_1) | instid1(VALU_DEP_1)
	v_lshlrev_b64_e32 v[24:25], s10, v[4:5]
	s_add_nc_u64 s[10:11], s[10:11], 8
	v_or_b32_e32 v22, v24, v22
	s_delay_alu instid0(VALU_DEP_2)
	v_or_b32_e32 v23, v25, v23
	s_cbranch_scc1 .LBB6_1070
.LBB6_1071:                             ;   in Loop: Header=BB6_1019 Depth=1
	s_wait_xcnt 0x0
	s_mov_b32 s10, 0
	s_branch .LBB6_1073
.LBB6_1072:                             ;   in Loop: Header=BB6_1019 Depth=1
	s_wait_xcnt 0x0
	s_mov_b32 s10, -1
.LBB6_1073:                             ;   in Loop: Header=BB6_1019 Depth=1
	s_delay_alu instid0(SALU_CYCLE_1)
	s_and_not1_b32 vcc_lo, exec_lo, s10
	s_cbranch_vccnz .LBB6_1075
; %bb.1074:                             ;   in Loop: Header=BB6_1019 Depth=1
	global_load_b64 v[22:23], v5, s[0:1]
.LBB6_1075:                             ;   in Loop: Header=BB6_1019 Depth=1
	s_wait_xcnt 0x0
	v_readfirstlane_b32 s0, v32
	v_mov_b64_e32 v[28:29], 0
	s_delay_alu instid0(VALU_DEP_2)
	v_cmp_eq_u32_e64 s0, s0, v32
	s_and_saveexec_b32 s1, s0
	s_cbranch_execz .LBB6_1081
; %bb.1076:                             ;   in Loop: Header=BB6_1019 Depth=1
	global_load_b64 v[26:27], v5, s[2:3] offset:24 scope:SCOPE_SYS
	s_wait_loadcnt 0x0
	global_inv scope:SCOPE_SYS
	s_clause 0x1
	global_load_b64 v[24:25], v5, s[2:3] offset:40
	global_load_b64 v[28:29], v5, s[2:3]
	s_mov_b32 s10, exec_lo
	s_wait_loadcnt 0x1
	v_and_b32_e32 v24, v24, v26
	v_and_b32_e32 v25, v25, v27
	s_delay_alu instid0(VALU_DEP_1) | instskip(SKIP_1) | instid1(VALU_DEP_1)
	v_mul_u64_e32 v[24:25], 24, v[24:25]
	s_wait_loadcnt 0x0
	v_add_nc_u64_e32 v[24:25], v[28:29], v[24:25]
	global_load_b64 v[24:25], v[24:25], off scope:SCOPE_SYS
	s_wait_xcnt 0x0
	s_wait_loadcnt 0x0
	global_atomic_cmpswap_b64 v[28:29], v5, v[24:27], s[2:3] offset:24 th:TH_ATOMIC_RETURN scope:SCOPE_SYS
	s_wait_loadcnt 0x0
	global_inv scope:SCOPE_SYS
	s_wait_xcnt 0x0
	v_cmpx_ne_u64_e64 v[28:29], v[26:27]
	s_cbranch_execz .LBB6_1080
; %bb.1077:                             ;   in Loop: Header=BB6_1019 Depth=1
	s_mov_b32 s11, 0
.LBB6_1078:                             ;   Parent Loop BB6_1019 Depth=1
                                        ; =>  This Inner Loop Header: Depth=2
	s_sleep 1
	s_clause 0x1
	global_load_b64 v[24:25], v5, s[2:3] offset:40
	global_load_b64 v[30:31], v5, s[2:3]
	v_mov_b64_e32 v[26:27], v[28:29]
	s_wait_loadcnt 0x1
	s_delay_alu instid0(VALU_DEP_1) | instskip(SKIP_1) | instid1(VALU_DEP_1)
	v_and_b32_e32 v1, v24, v26
	s_wait_loadcnt 0x0
	v_mad_nc_u64_u32 v[28:29], v1, 24, v[30:31]
	s_delay_alu instid0(VALU_DEP_3) | instskip(NEXT) | instid1(VALU_DEP_1)
	v_and_b32_e32 v1, v25, v27
	v_mad_u32 v29, v1, 24, v29
	global_load_b64 v[24:25], v[28:29], off scope:SCOPE_SYS
	s_wait_xcnt 0x0
	s_wait_loadcnt 0x0
	global_atomic_cmpswap_b64 v[28:29], v5, v[24:27], s[2:3] offset:24 th:TH_ATOMIC_RETURN scope:SCOPE_SYS
	s_wait_loadcnt 0x0
	global_inv scope:SCOPE_SYS
	v_cmp_eq_u64_e32 vcc_lo, v[28:29], v[26:27]
	s_or_b32 s11, vcc_lo, s11
	s_wait_xcnt 0x0
	s_and_not1_b32 exec_lo, exec_lo, s11
	s_cbranch_execnz .LBB6_1078
; %bb.1079:                             ;   in Loop: Header=BB6_1019 Depth=1
	s_or_b32 exec_lo, exec_lo, s11
.LBB6_1080:                             ;   in Loop: Header=BB6_1019 Depth=1
	s_delay_alu instid0(SALU_CYCLE_1)
	s_or_b32 exec_lo, exec_lo, s10
.LBB6_1081:                             ;   in Loop: Header=BB6_1019 Depth=1
	s_delay_alu instid0(SALU_CYCLE_1)
	s_or_b32 exec_lo, exec_lo, s1
	s_clause 0x1
	global_load_b64 v[30:31], v5, s[2:3] offset:40
	global_load_b128 v[24:27], v5, s[2:3]
	v_readfirstlane_b32 s10, v28
	v_readfirstlane_b32 s11, v29
	s_mov_b32 s1, exec_lo
	s_wait_loadcnt 0x1
	v_and_b32_e32 v30, s10, v30
	v_and_b32_e32 v31, s11, v31
	s_delay_alu instid0(VALU_DEP_1) | instskip(SKIP_1) | instid1(VALU_DEP_1)
	v_mul_u64_e32 v[28:29], 24, v[30:31]
	s_wait_loadcnt 0x0
	v_add_nc_u64_e32 v[28:29], v[24:25], v[28:29]
	s_wait_xcnt 0x0
	s_and_saveexec_b32 s12, s0
	s_cbranch_execz .LBB6_1083
; %bb.1082:                             ;   in Loop: Header=BB6_1019 Depth=1
	v_mov_b32_e32 v4, s1
	global_store_b128 v[28:29], v[4:7], off offset:8
.LBB6_1083:                             ;   in Loop: Header=BB6_1019 Depth=1
	s_wait_xcnt 0x0
	s_or_b32 exec_lo, exec_lo, s12
	v_cmp_gt_u64_e64 s1, s[6:7], 56
	v_lshlrev_b64_e32 v[30:31], 12, v[30:31]
	v_and_b32_e32 v1, 0xffffff1f, v8
	s_and_b32 s1, s1, exec_lo
	s_delay_alu instid0(VALU_DEP_2) | instskip(SKIP_4) | instid1(VALU_DEP_2)
	v_add_nc_u64_e32 v[26:27], v[26:27], v[30:31]
	s_cselect_b32 s1, 0, 2
	s_lshl_b32 s12, s8, 2
	v_or_b32_e32 v1, s1, v1
	s_add_co_i32 s1, s12, 28
	v_readfirstlane_b32 s12, v26
	s_delay_alu instid0(VALU_DEP_3) | instskip(NEXT) | instid1(VALU_DEP_3)
	v_readfirstlane_b32 s13, v27
	v_and_or_b32 v8, 0x1e0, s1, v1
	s_clause 0x3
	global_store_b128 v0, v[8:11], s[12:13]
	global_store_b128 v0, v[12:15], s[12:13] offset:16
	global_store_b128 v0, v[16:19], s[12:13] offset:32
	global_store_b128 v0, v[20:23], s[12:13] offset:48
	s_wait_xcnt 0x0
	s_and_saveexec_b32 s1, s0
	s_cbranch_execz .LBB6_1091
; %bb.1084:                             ;   in Loop: Header=BB6_1019 Depth=1
	s_clause 0x1
	global_load_b64 v[16:17], v5, s[2:3] offset:32 scope:SCOPE_SYS
	global_load_b64 v[8:9], v5, s[2:3] offset:40
	s_mov_b32 s12, exec_lo
	v_dual_mov_b32 v14, s10 :: v_dual_mov_b32 v15, s11
	s_wait_loadcnt 0x0
	v_and_b32_e32 v9, s11, v9
	v_and_b32_e32 v8, s10, v8
	s_delay_alu instid0(VALU_DEP_1) | instskip(NEXT) | instid1(VALU_DEP_1)
	v_mul_u64_e32 v[8:9], 24, v[8:9]
	v_add_nc_u64_e32 v[12:13], v[24:25], v[8:9]
	global_store_b64 v[12:13], v[16:17], off
	global_wb scope:SCOPE_SYS
	s_wait_storecnt 0x0
	s_wait_xcnt 0x0
	global_atomic_cmpswap_b64 v[10:11], v5, v[14:17], s[2:3] offset:32 th:TH_ATOMIC_RETURN scope:SCOPE_SYS
	s_wait_loadcnt 0x0
	v_cmpx_ne_u64_e64 v[10:11], v[16:17]
	s_cbranch_execz .LBB6_1087
; %bb.1085:                             ;   in Loop: Header=BB6_1019 Depth=1
	s_mov_b32 s13, 0
.LBB6_1086:                             ;   Parent Loop BB6_1019 Depth=1
                                        ; =>  This Inner Loop Header: Depth=2
	v_dual_mov_b32 v8, s10 :: v_dual_mov_b32 v9, s11
	s_sleep 1
	global_store_b64 v[12:13], v[10:11], off
	global_wb scope:SCOPE_SYS
	s_wait_storecnt 0x0
	s_wait_xcnt 0x0
	global_atomic_cmpswap_b64 v[8:9], v5, v[8:11], s[2:3] offset:32 th:TH_ATOMIC_RETURN scope:SCOPE_SYS
	s_wait_loadcnt 0x0
	v_cmp_eq_u64_e32 vcc_lo, v[8:9], v[10:11]
	v_mov_b64_e32 v[10:11], v[8:9]
	s_or_b32 s13, vcc_lo, s13
	s_delay_alu instid0(SALU_CYCLE_1)
	s_and_not1_b32 exec_lo, exec_lo, s13
	s_cbranch_execnz .LBB6_1086
.LBB6_1087:                             ;   in Loop: Header=BB6_1019 Depth=1
	s_or_b32 exec_lo, exec_lo, s12
	global_load_b64 v[8:9], v5, s[2:3] offset:16
	s_mov_b32 s13, exec_lo
	s_mov_b32 s12, exec_lo
	v_mbcnt_lo_u32_b32 v1, s13, 0
	s_wait_xcnt 0x0
	s_delay_alu instid0(VALU_DEP_1)
	v_cmpx_eq_u32_e32 0, v1
	s_cbranch_execz .LBB6_1089
; %bb.1088:                             ;   in Loop: Header=BB6_1019 Depth=1
	s_bcnt1_i32_b32 s13, s13
	s_delay_alu instid0(SALU_CYCLE_1)
	v_mov_b32_e32 v4, s13
	global_wb scope:SCOPE_SYS
	s_wait_loadcnt 0x0
	s_wait_storecnt 0x0
	global_atomic_add_u64 v[8:9], v[4:5], off offset:8 scope:SCOPE_SYS
.LBB6_1089:                             ;   in Loop: Header=BB6_1019 Depth=1
	s_wait_xcnt 0x0
	s_or_b32 exec_lo, exec_lo, s12
	s_wait_loadcnt 0x0
	global_load_b64 v[10:11], v[8:9], off offset:16
	s_wait_loadcnt 0x0
	v_cmp_eq_u64_e32 vcc_lo, 0, v[10:11]
	s_cbranch_vccnz .LBB6_1091
; %bb.1090:                             ;   in Loop: Header=BB6_1019 Depth=1
	global_load_b32 v4, v[8:9], off offset:24
	s_wait_loadcnt 0x0
	v_readfirstlane_b32 s12, v4
	global_wb scope:SCOPE_SYS
	s_wait_storecnt 0x0
	s_wait_xcnt 0x0
	global_store_b64 v[10:11], v[4:5], off scope:SCOPE_SYS
	s_and_b32 m0, s12, 0xffffff
	s_sendmsg sendmsg(MSG_INTERRUPT)
.LBB6_1091:                             ;   in Loop: Header=BB6_1019 Depth=1
	s_wait_xcnt 0x0
	s_or_b32 exec_lo, exec_lo, s1
	v_mov_b32_e32 v1, v5
	s_delay_alu instid0(VALU_DEP_1)
	v_add_nc_u64_e32 v[8:9], v[26:27], v[0:1]
	s_branch .LBB6_1095
.LBB6_1092:                             ;   in Loop: Header=BB6_1095 Depth=2
	s_wait_xcnt 0x0
	s_or_b32 exec_lo, exec_lo, s1
	s_delay_alu instid0(VALU_DEP_1)
	v_readfirstlane_b32 s1, v1
	s_cmp_eq_u32 s1, 0
	s_cbranch_scc1 .LBB6_1094
; %bb.1093:                             ;   in Loop: Header=BB6_1095 Depth=2
	s_sleep 1
	s_cbranch_execnz .LBB6_1095
	s_branch .LBB6_1097
.LBB6_1094:                             ;   in Loop: Header=BB6_1019 Depth=1
	s_branch .LBB6_1097
.LBB6_1095:                             ;   Parent Loop BB6_1019 Depth=1
                                        ; =>  This Inner Loop Header: Depth=2
	v_mov_b32_e32 v1, 1
	s_and_saveexec_b32 s1, s0
	s_cbranch_execz .LBB6_1092
; %bb.1096:                             ;   in Loop: Header=BB6_1095 Depth=2
	global_load_b32 v1, v[28:29], off offset:20 scope:SCOPE_SYS
	s_wait_loadcnt 0x0
	global_inv scope:SCOPE_SYS
	v_and_b32_e32 v1, 1, v1
	s_branch .LBB6_1092
.LBB6_1097:                             ;   in Loop: Header=BB6_1019 Depth=1
	global_load_b128 v[8:11], v[8:9], off
	s_wait_xcnt 0x0
	s_and_saveexec_b32 s12, s0
	s_cbranch_execz .LBB6_1018
; %bb.1098:                             ;   in Loop: Header=BB6_1019 Depth=1
	s_wait_loadcnt 0x0
	s_clause 0x2
	global_load_b64 v[10:11], v5, s[2:3] offset:40
	global_load_b64 v[18:19], v5, s[2:3] offset:24 scope:SCOPE_SYS
	global_load_b64 v[12:13], v5, s[2:3]
	s_wait_loadcnt 0x2
	v_readfirstlane_b32 s14, v10
	v_readfirstlane_b32 s15, v11
	s_add_nc_u64 s[0:1], s[14:15], 1
	s_delay_alu instid0(SALU_CYCLE_1) | instskip(NEXT) | instid1(SALU_CYCLE_1)
	s_add_nc_u64 s[10:11], s[0:1], s[10:11]
	s_cmp_eq_u64 s[10:11], 0
	s_cselect_b32 s1, s1, s11
	s_cselect_b32 s0, s0, s10
	s_delay_alu instid0(SALU_CYCLE_1) | instskip(SKIP_1) | instid1(SALU_CYCLE_1)
	v_dual_mov_b32 v17, s1 :: v_dual_mov_b32 v16, s0
	s_and_b64 s[10:11], s[0:1], s[14:15]
	s_mul_u64 s[10:11], s[10:11], 24
	s_wait_loadcnt 0x0
	v_add_nc_u64_e32 v[14:15], s[10:11], v[12:13]
	global_store_b64 v[14:15], v[18:19], off
	global_wb scope:SCOPE_SYS
	s_wait_storecnt 0x0
	s_wait_xcnt 0x0
	global_atomic_cmpswap_b64 v[12:13], v5, v[16:19], s[2:3] offset:24 th:TH_ATOMIC_RETURN scope:SCOPE_SYS
	s_wait_loadcnt 0x0
	v_cmp_ne_u64_e32 vcc_lo, v[12:13], v[18:19]
	s_and_b32 exec_lo, exec_lo, vcc_lo
	s_cbranch_execz .LBB6_1018
; %bb.1099:                             ;   in Loop: Header=BB6_1019 Depth=1
	s_mov_b32 s10, 0
.LBB6_1100:                             ;   Parent Loop BB6_1019 Depth=1
                                        ; =>  This Inner Loop Header: Depth=2
	v_dual_mov_b32 v10, s0 :: v_dual_mov_b32 v11, s1
	s_sleep 1
	global_store_b64 v[14:15], v[12:13], off
	global_wb scope:SCOPE_SYS
	s_wait_storecnt 0x0
	s_wait_xcnt 0x0
	global_atomic_cmpswap_b64 v[10:11], v5, v[10:13], s[2:3] offset:24 th:TH_ATOMIC_RETURN scope:SCOPE_SYS
	s_wait_loadcnt 0x0
	v_cmp_eq_u64_e32 vcc_lo, v[10:11], v[12:13]
	v_mov_b64_e32 v[12:13], v[10:11]
	s_or_b32 s10, vcc_lo, s10
	s_delay_alu instid0(SALU_CYCLE_1)
	s_and_not1_b32 exec_lo, exec_lo, s10
	s_cbranch_execnz .LBB6_1100
	s_branch .LBB6_1018
.LBB6_1101:
	s_mov_b32 s0, 0
	s_branch .LBB6_1103
.LBB6_1102:
	s_mov_b32 s0, -1
.LBB6_1103:
	s_delay_alu instid0(SALU_CYCLE_1)
	s_and_b32 vcc_lo, exec_lo, s0
	s_cbranch_vccz .LBB6_1131
; %bb.1104:
	v_readfirstlane_b32 s0, v32
	s_wait_loadcnt 0x0
	v_mov_b64_e32 v[10:11], 0
	s_delay_alu instid0(VALU_DEP_2)
	v_cmp_eq_u32_e64 s0, s0, v32
	s_and_saveexec_b32 s1, s0
	s_cbranch_execz .LBB6_1110
; %bb.1105:
	v_mov_b32_e32 v1, 0
	s_mov_b32 s4, exec_lo
	global_load_b64 v[6:7], v1, s[2:3] offset:24 scope:SCOPE_SYS
	s_wait_loadcnt 0x0
	global_inv scope:SCOPE_SYS
	s_clause 0x1
	global_load_b64 v[4:5], v1, s[2:3] offset:40
	global_load_b64 v[8:9], v1, s[2:3]
	s_wait_loadcnt 0x1
	v_and_b32_e32 v4, v4, v6
	v_and_b32_e32 v5, v5, v7
	s_delay_alu instid0(VALU_DEP_1) | instskip(SKIP_1) | instid1(VALU_DEP_1)
	v_mul_u64_e32 v[4:5], 24, v[4:5]
	s_wait_loadcnt 0x0
	v_add_nc_u64_e32 v[4:5], v[8:9], v[4:5]
	global_load_b64 v[4:5], v[4:5], off scope:SCOPE_SYS
	s_wait_xcnt 0x0
	s_wait_loadcnt 0x0
	global_atomic_cmpswap_b64 v[10:11], v1, v[4:7], s[2:3] offset:24 th:TH_ATOMIC_RETURN scope:SCOPE_SYS
	s_wait_loadcnt 0x0
	global_inv scope:SCOPE_SYS
	s_wait_xcnt 0x0
	v_cmpx_ne_u64_e64 v[10:11], v[6:7]
	s_cbranch_execz .LBB6_1109
; %bb.1106:
	s_mov_b32 s5, 0
.LBB6_1107:                             ; =>This Inner Loop Header: Depth=1
	s_sleep 1
	s_clause 0x1
	global_load_b64 v[4:5], v1, s[2:3] offset:40
	global_load_b64 v[8:9], v1, s[2:3]
	v_mov_b64_e32 v[6:7], v[10:11]
	s_wait_loadcnt 0x1
	s_delay_alu instid0(VALU_DEP_1) | instskip(SKIP_1) | instid1(VALU_DEP_1)
	v_and_b32_e32 v4, v4, v6
	s_wait_loadcnt 0x0
	v_mad_nc_u64_u32 v[8:9], v4, 24, v[8:9]
	s_delay_alu instid0(VALU_DEP_3) | instskip(NEXT) | instid1(VALU_DEP_1)
	v_and_b32_e32 v4, v5, v7
	v_mad_u32 v9, v4, 24, v9
	global_load_b64 v[4:5], v[8:9], off scope:SCOPE_SYS
	s_wait_xcnt 0x0
	s_wait_loadcnt 0x0
	global_atomic_cmpswap_b64 v[10:11], v1, v[4:7], s[2:3] offset:24 th:TH_ATOMIC_RETURN scope:SCOPE_SYS
	s_wait_loadcnt 0x0
	global_inv scope:SCOPE_SYS
	v_cmp_eq_u64_e32 vcc_lo, v[10:11], v[6:7]
	s_or_b32 s5, vcc_lo, s5
	s_wait_xcnt 0x0
	s_and_not1_b32 exec_lo, exec_lo, s5
	s_cbranch_execnz .LBB6_1107
; %bb.1108:
	s_or_b32 exec_lo, exec_lo, s5
.LBB6_1109:
	s_delay_alu instid0(SALU_CYCLE_1)
	s_or_b32 exec_lo, exec_lo, s4
.LBB6_1110:
	s_delay_alu instid0(SALU_CYCLE_1)
	s_or_b32 exec_lo, exec_lo, s1
	v_readfirstlane_b32 s4, v10
	v_mov_b32_e32 v4, 0
	v_readfirstlane_b32 s5, v11
	s_mov_b32 s1, exec_lo
	s_clause 0x1
	global_load_b64 v[12:13], v4, s[2:3] offset:40
	global_load_b128 v[6:9], v4, s[2:3]
	s_wait_loadcnt 0x1
	v_and_b32_e32 v12, s4, v12
	v_and_b32_e32 v13, s5, v13
	s_delay_alu instid0(VALU_DEP_1) | instskip(SKIP_1) | instid1(VALU_DEP_1)
	v_mul_u64_e32 v[10:11], 24, v[12:13]
	s_wait_loadcnt 0x0
	v_add_nc_u64_e32 v[10:11], v[6:7], v[10:11]
	s_wait_xcnt 0x0
	s_and_saveexec_b32 s6, s0
	s_cbranch_execz .LBB6_1112
; %bb.1111:
	v_mov_b64_e32 v[16:17], 0x100000002
	v_dual_mov_b32 v14, s1 :: v_dual_mov_b32 v15, v4
	global_store_b128 v[10:11], v[14:17], off offset:8
.LBB6_1112:
	s_wait_xcnt 0x0
	s_or_b32 exec_lo, exec_lo, s6
	v_lshlrev_b64_e32 v[12:13], 12, v[12:13]
	s_mov_b32 s8, 0
	v_and_or_b32 v2, 0xffffff1d, v2, 34
	s_mov_b32 s10, s8
	s_mov_b32 s11, s8
	;; [unrolled: 1-line block ×3, first 2 shown]
	v_mov_b32_e32 v5, v4
	v_add_nc_u64_e32 v[8:9], v[8:9], v[12:13]
	v_mov_b64_e32 v[14:15], s[10:11]
	v_mov_b64_e32 v[12:13], s[8:9]
	s_delay_alu instid0(VALU_DEP_3) | instskip(NEXT) | instid1(VALU_DEP_4)
	v_readfirstlane_b32 s6, v8
	v_readfirstlane_b32 s7, v9
	s_clause 0x3
	global_store_b128 v0, v[2:5], s[6:7]
	global_store_b128 v0, v[12:15], s[6:7] offset:16
	global_store_b128 v0, v[12:15], s[6:7] offset:32
	;; [unrolled: 1-line block ×3, first 2 shown]
	s_wait_xcnt 0x0
	s_and_saveexec_b32 s1, s0
	s_cbranch_execz .LBB6_1120
; %bb.1113:
	v_dual_mov_b32 v8, 0 :: v_dual_mov_b32 v13, s5
	s_mov_b32 s6, exec_lo
	s_clause 0x1
	global_load_b64 v[14:15], v8, s[2:3] offset:32 scope:SCOPE_SYS
	global_load_b64 v[0:1], v8, s[2:3] offset:40
	s_wait_loadcnt 0x0
	v_dual_mov_b32 v12, s4 :: v_dual_bitop2_b32 v1, s5, v1 bitop3:0x40
	v_and_b32_e32 v0, s4, v0
	s_delay_alu instid0(VALU_DEP_1) | instskip(NEXT) | instid1(VALU_DEP_1)
	v_mul_u64_e32 v[0:1], 24, v[0:1]
	v_add_nc_u64_e32 v[4:5], v[6:7], v[0:1]
	global_store_b64 v[4:5], v[14:15], off
	global_wb scope:SCOPE_SYS
	s_wait_storecnt 0x0
	s_wait_xcnt 0x0
	global_atomic_cmpswap_b64 v[2:3], v8, v[12:15], s[2:3] offset:32 th:TH_ATOMIC_RETURN scope:SCOPE_SYS
	s_wait_loadcnt 0x0
	v_cmpx_ne_u64_e64 v[2:3], v[14:15]
	s_cbranch_execz .LBB6_1116
; %bb.1114:
	s_mov_b32 s7, 0
.LBB6_1115:                             ; =>This Inner Loop Header: Depth=1
	v_dual_mov_b32 v0, s4 :: v_dual_mov_b32 v1, s5
	s_sleep 1
	global_store_b64 v[4:5], v[2:3], off
	global_wb scope:SCOPE_SYS
	s_wait_storecnt 0x0
	s_wait_xcnt 0x0
	global_atomic_cmpswap_b64 v[0:1], v8, v[0:3], s[2:3] offset:32 th:TH_ATOMIC_RETURN scope:SCOPE_SYS
	s_wait_loadcnt 0x0
	v_cmp_eq_u64_e32 vcc_lo, v[0:1], v[2:3]
	v_mov_b64_e32 v[2:3], v[0:1]
	s_or_b32 s7, vcc_lo, s7
	s_delay_alu instid0(SALU_CYCLE_1)
	s_and_not1_b32 exec_lo, exec_lo, s7
	s_cbranch_execnz .LBB6_1115
.LBB6_1116:
	s_or_b32 exec_lo, exec_lo, s6
	v_mov_b32_e32 v3, 0
	s_mov_b32 s7, exec_lo
	s_mov_b32 s6, exec_lo
	v_mbcnt_lo_u32_b32 v2, s7, 0
	global_load_b64 v[0:1], v3, s[2:3] offset:16
	s_wait_xcnt 0x0
	v_cmpx_eq_u32_e32 0, v2
	s_cbranch_execz .LBB6_1118
; %bb.1117:
	s_bcnt1_i32_b32 s7, s7
	s_delay_alu instid0(SALU_CYCLE_1)
	v_mov_b32_e32 v2, s7
	global_wb scope:SCOPE_SYS
	s_wait_loadcnt 0x0
	s_wait_storecnt 0x0
	global_atomic_add_u64 v[0:1], v[2:3], off offset:8 scope:SCOPE_SYS
.LBB6_1118:
	s_wait_xcnt 0x0
	s_or_b32 exec_lo, exec_lo, s6
	s_wait_loadcnt 0x0
	global_load_b64 v[2:3], v[0:1], off offset:16
	s_wait_loadcnt 0x0
	v_cmp_eq_u64_e32 vcc_lo, 0, v[2:3]
	s_cbranch_vccnz .LBB6_1120
; %bb.1119:
	global_load_b32 v0, v[0:1], off offset:24
	s_wait_xcnt 0x0
	v_mov_b32_e32 v1, 0
	s_wait_loadcnt 0x0
	v_readfirstlane_b32 s6, v0
	global_wb scope:SCOPE_SYS
	s_wait_storecnt 0x0
	global_store_b64 v[2:3], v[0:1], off scope:SCOPE_SYS
	s_and_b32 m0, s6, 0xffffff
	s_sendmsg sendmsg(MSG_INTERRUPT)
.LBB6_1120:
	s_wait_xcnt 0x0
	s_or_b32 exec_lo, exec_lo, s1
	s_branch .LBB6_1124
.LBB6_1121:                             ;   in Loop: Header=BB6_1124 Depth=1
	s_wait_xcnt 0x0
	s_or_b32 exec_lo, exec_lo, s1
	s_delay_alu instid0(VALU_DEP_1)
	v_readfirstlane_b32 s1, v0
	s_cmp_eq_u32 s1, 0
	s_cbranch_scc1 .LBB6_1123
; %bb.1122:                             ;   in Loop: Header=BB6_1124 Depth=1
	s_sleep 1
	s_cbranch_execnz .LBB6_1124
	s_branch .LBB6_1126
.LBB6_1123:
	s_branch .LBB6_1126
.LBB6_1124:                             ; =>This Inner Loop Header: Depth=1
	v_mov_b32_e32 v0, 1
	s_and_saveexec_b32 s1, s0
	s_cbranch_execz .LBB6_1121
; %bb.1125:                             ;   in Loop: Header=BB6_1124 Depth=1
	global_load_b32 v0, v[10:11], off offset:20 scope:SCOPE_SYS
	s_wait_loadcnt 0x0
	global_inv scope:SCOPE_SYS
	v_and_b32_e32 v0, 1, v0
	s_branch .LBB6_1121
.LBB6_1126:
	s_and_saveexec_b32 s6, s0
	s_cbranch_execz .LBB6_1130
; %bb.1127:
	v_mov_b32_e32 v6, 0
	s_clause 0x2
	global_load_b64 v[0:1], v6, s[2:3] offset:40
	global_load_b64 v[10:11], v6, s[2:3] offset:24 scope:SCOPE_SYS
	global_load_b64 v[2:3], v6, s[2:3]
	s_wait_loadcnt 0x2
	v_readfirstlane_b32 s8, v0
	v_readfirstlane_b32 s9, v1
	s_add_nc_u64 s[0:1], s[8:9], 1
	s_delay_alu instid0(SALU_CYCLE_1) | instskip(NEXT) | instid1(SALU_CYCLE_1)
	s_add_nc_u64 s[4:5], s[0:1], s[4:5]
	s_cmp_eq_u64 s[4:5], 0
	s_cselect_b32 s1, s1, s5
	s_cselect_b32 s0, s0, s4
	v_mov_b32_e32 v9, s1
	s_and_b64 s[4:5], s[0:1], s[8:9]
	v_mov_b32_e32 v8, s0
	s_mul_u64 s[4:5], s[4:5], 24
	s_wait_loadcnt 0x0
	v_add_nc_u64_e32 v[4:5], s[4:5], v[2:3]
	global_store_b64 v[4:5], v[10:11], off
	global_wb scope:SCOPE_SYS
	s_wait_storecnt 0x0
	s_wait_xcnt 0x0
	global_atomic_cmpswap_b64 v[2:3], v6, v[8:11], s[2:3] offset:24 th:TH_ATOMIC_RETURN scope:SCOPE_SYS
	s_wait_loadcnt 0x0
	v_cmp_ne_u64_e32 vcc_lo, v[2:3], v[10:11]
	s_and_b32 exec_lo, exec_lo, vcc_lo
	s_cbranch_execz .LBB6_1130
; %bb.1128:
	s_mov_b32 s4, 0
.LBB6_1129:                             ; =>This Inner Loop Header: Depth=1
	v_dual_mov_b32 v0, s0 :: v_dual_mov_b32 v1, s1
	s_sleep 1
	global_store_b64 v[4:5], v[2:3], off
	global_wb scope:SCOPE_SYS
	s_wait_storecnt 0x0
	s_wait_xcnt 0x0
	global_atomic_cmpswap_b64 v[0:1], v6, v[0:3], s[2:3] offset:24 th:TH_ATOMIC_RETURN scope:SCOPE_SYS
	s_wait_loadcnt 0x0
	v_cmp_eq_u64_e32 vcc_lo, v[0:1], v[2:3]
	v_mov_b64_e32 v[2:3], v[0:1]
	s_or_b32 s4, vcc_lo, s4
	s_delay_alu instid0(SALU_CYCLE_1)
	s_and_not1_b32 exec_lo, exec_lo, s4
	s_cbranch_execnz .LBB6_1129
.LBB6_1130:
	s_or_b32 exec_lo, exec_lo, s6
.LBB6_1131:
	s_get_pc_i64 s[0:1]
	s_add_nc_u64 s[0:1], s[0:1], .str.29@rel64+4
	s_get_pc_i64 s[2:3]
	s_add_nc_u64 s[2:3], s[2:3], .str.19@rel64+4
	s_get_pc_i64 s[4:5]
	s_add_nc_u64 s[4:5], s[4:5], __PRETTY_FUNCTION__._ZN7VecsMemIjLi8192EE5fetchEi@rel64+4
	v_dual_mov_b32 v0, s0 :: v_dual_mov_b32 v1, s1
	s_wait_loadcnt 0x0
	v_dual_mov_b32 v2, s2 :: v_dual_mov_b32 v3, s3
	v_dual_mov_b32 v4, 12 :: v_dual_mov_b32 v5, s4
	v_mov_b32_e32 v6, s5
	s_get_pc_i64 s[6:7]
	s_add_nc_u64 s[6:7], s[6:7], __assert_fail@rel64+4
	s_mov_b64 s[8:9], s[52:53]
	s_swap_pc_i64 s[30:31], s[6:7]
	s_or_b32 s0, s67, exec_lo
.LBB6_1132:
	s_or_b32 exec_lo, exec_lo, s19
	s_delay_alu instid0(SALU_CYCLE_1) | instskip(SKIP_1) | instid1(SALU_CYCLE_1)
	s_and_not1_b32 s1, s67, exec_lo
	s_and_b32 s0, s0, exec_lo
	s_or_b32 s69, s1, s0
	s_or_not1_b32 s0, s17, exec_lo
.LBB6_1133:
	s_or_b32 exec_lo, exec_lo, s18
	s_mov_b32 s1, 0
                                        ; implicit-def: $vgpr44
	s_and_saveexec_b32 s70, s0
	s_cbranch_execz .LBB6_1353
; %bb.1134:
	s_mov_b32 s2, -1
	s_mov_b32 s0, exec_lo
	scratch_store_b64 off, v[82:83], s33 offset:88
	s_wait_xcnt 0x0
	v_cmpx_lt_i32_e32 0, v80
	s_cbranch_execz .LBB6_1142
; %bb.1135:
	v_not_b32_e32 v4, v55
	v_dual_mov_b32 v0, 0 :: v_dual_mov_b32 v5, 0
	s_mov_b32 s2, 0
	s_branch .LBB6_1137
.LBB6_1136:                             ;   in Loop: Header=BB6_1137 Depth=1
	s_wait_xcnt 0x0
	s_or_b32 exec_lo, exec_lo, s3
	v_ashrrev_i32_e32 v1, 31, v0
	s_add_co_i32 s2, s2, 1
	v_add_nc_u64_e32 v[66:67], 4, v[66:67]
	s_delay_alu instid0(VALU_DEP_2)
	v_lshl_add_u64 v[0:1], v[0:1], 2, v[2:3]
	flat_store_b32 v[0:1], v7
	flat_load_b32 v0, v[64:65] offset:4
	s_wait_loadcnt_dscnt 0x0
	v_cmp_ge_i32_e32 vcc_lo, s2, v0
	v_mov_b32_e32 v0, v6
	s_or_b32 s1, vcc_lo, s1
	s_wait_xcnt 0x0
	s_and_not1_b32 exec_lo, exec_lo, s1
	s_cbranch_execz .LBB6_1141
.LBB6_1137:                             ; =>This Inner Loop Header: Depth=1
	flat_load_b32 v7, v[66:67]
	s_mov_b32 s3, exec_lo
                                        ; implicit-def: $vgpr6
	s_wait_loadcnt_dscnt 0x0
	v_and_b32_e32 v1, v7, v55
	s_wait_xcnt 0x0
	s_delay_alu instid0(VALU_DEP_1)
	v_cmpx_ne_u32_e32 0, v1
	s_xor_b32 s3, exec_lo, s3
	s_cbranch_execz .LBB6_1139
; %bb.1138:                             ;   in Loop: Header=BB6_1137 Depth=1
	v_add_nc_u32_e32 v6, 1, v0
	v_and_b32_e32 v7, v7, v4
	scratch_store_b32 off, v6, s33 offset:68
.LBB6_1139:                             ;   in Loop: Header=BB6_1137 Depth=1
	s_wait_xcnt 0x0
	s_or_saveexec_b32 s3, s3
	v_mov_b64_e32 v[2:3], v[70:71]
	v_mov_b32_e32 v8, v5
	s_xor_b32 exec_lo, exec_lo, s3
	s_cbranch_execz .LBB6_1136
; %bb.1140:                             ;   in Loop: Header=BB6_1137 Depth=1
	v_dual_add_nc_u32 v8, 1, v5 :: v_dual_mov_b32 v6, v0
	v_mov_b64_e32 v[2:3], v[82:83]
	s_delay_alu instid0(VALU_DEP_2)
	v_dual_mov_b32 v0, v5 :: v_dual_mov_b32 v5, v8
	scratch_store_b32 off, v8, s33 offset:84
	s_branch .LBB6_1136
.LBB6_1141:
	s_or_b32 exec_lo, exec_lo, s1
	v_cmp_eq_u32_e32 vcc_lo, 0, v8
	s_or_not1_b32 s2, vcc_lo, exec_lo
.LBB6_1142:
	s_or_b32 exec_lo, exec_lo, s0
	flat_load_b32 v0, v[68:69] offset:4
	v_mbcnt_lo_u32_b32 v45, -1, 0
	s_xor_b32 s71, s2, -1
	s_add_co_i32 s0, s33, 64
	v_dual_mov_b32 v1, 0 :: v_dual_mov_b32 v2, v41
	s_delay_alu instid0(VALU_DEP_2)
	v_dual_mov_b32 v62, s0 :: v_dual_lshlrev_b32 v63, 20, v45
	v_dual_mov_b32 v3, v42 :: v_dual_mov_b32 v4, v43
	s_get_pc_i64 s[0:1]
	s_add_nc_u64 s[0:1], s[0:1], _ZN3sop23sopFactorTrivialCubeRecEjiiPN8subgUtil4SubgILi256EEE@rel64+4
	s_mov_b64 s[8:9], s[52:53]
	v_add_nc_u64_e32 v[56:57], src_flat_scratch_base_lo, v[62:63]
	s_swap_pc_i64 s[30:31], s[0:1]
	s_delay_alu instid0(VALU_DEP_1) | instskip(NEXT) | instid1(VALU_DEP_2)
	v_dual_mov_b32 v40, v0 :: v_dual_mov_b32 v0, v56
	v_dual_mov_b32 v1, v57 :: v_dual_mov_b32 v2, v41
	;; [unrolled: 1-line block ×4, first 2 shown]
	s_get_pc_i64 s[34:35]
	s_add_nc_u64 s[34:35], s[34:35], _ZN3sop12sopFactorRecEPNS_3SopEiP7VecsMemIjLi8192EEPN8subgUtil4SubgILi256EEE@rel64+4
	s_mov_b64 s[8:9], s[52:53]
	s_swap_pc_i64 s[30:31], s[34:35]
	flat_load_b32 v2, v[42:43]
	s_mov_b32 s36, s69
	s_mov_b32 s0, exec_lo
	s_wait_loadcnt_dscnt 0x0
	v_cmpx_lt_i32_e32 0xff, v2
	s_xor_b32 s17, exec_lo, s0
	s_cbranch_execz .LBB6_1144
; %bb.1143:
	s_get_pc_i64 s[0:1]
	s_add_nc_u64 s[0:1], s[0:1], .str.43@rel64+4
	s_get_pc_i64 s[2:3]
	s_add_nc_u64 s[2:3], s[2:3], .str.44@rel64+4
	s_get_pc_i64 s[4:5]
	s_add_nc_u64 s[4:5], s[4:5], __PRETTY_FUNCTION__._ZN8subgUtil4SubgILi256EE10addNodeAndEii@rel64+4
	v_dual_mov_b32 v0, s0 :: v_dual_mov_b32 v1, s1
	v_dual_mov_b32 v2, s2 :: v_dual_mov_b32 v3, s3
	;; [unrolled: 1-line block ×3, first 2 shown]
	v_mov_b32_e32 v6, s5
	s_get_pc_i64 s[6:7]
	s_add_nc_u64 s[6:7], s[6:7], __assert_fail@rel64+4
	s_mov_b64 s[8:9], s[52:53]
	s_swap_pc_i64 s[30:31], s[6:7]
	s_or_b32 s36, s69, exec_lo
                                        ; implicit-def: $vgpr0
                                        ; implicit-def: $vgpr40
                                        ; implicit-def: $vgpr2
                                        ; implicit-def: $vgpr42_vgpr43
                                        ; implicit-def: $vgpr63
                                        ; implicit-def: $vgpr60_vgpr61
                                        ; implicit-def: $vgpr41
                                        ; implicit-def: $vgpr45
.LBB6_1144:
	s_or_saveexec_b32 s37, s17
	s_mov_b32 s0, 0
                                        ; implicit-def: $vgpr44
	s_xor_b32 exec_lo, exec_lo, s37
	s_cbranch_execz .LBB6_1352
; %bb.1145:
	v_or_b32_e32 v1, v0, v40
	s_mov_b32 s0, -1
	s_mov_b32 s17, 0
	s_mov_b32 s18, s36
                                        ; implicit-def: $vgpr44
	s_mov_b32 s1, exec_lo
	v_cmpx_lt_i32_e32 -1, v1
	s_xor_b32 s38, exec_lo, s1
	s_cbranch_execz .LBB6_1349
; %bb.1146:
	v_dual_ashrrev_i32 v3, 31, v2 :: v_dual_max_i32 v4, v40, v0
	v_dual_add_nc_u32 v6, 1, v2 :: v_dual_min_i32 v1, v40, v0
	s_mov_b32 s1, s36
	s_delay_alu instid0(VALU_DEP_2) | instskip(NEXT) | instid1(VALU_DEP_3)
	v_dual_lshlrev_b32 v0, 1, v4 :: v_dual_lshlrev_b32 v44, 1, v2
	v_lshl_add_u64 v[4:5], v[2:3], 3, v[42:43]
	s_clause 0x1
	flat_store_b32 v[42:43], v6
	flat_store_b64 v[4:5], v[0:1] offset:8
	s_wait_xcnt 0x0
	s_and_saveexec_b32 s39, s71
	s_cbranch_execz .LBB6_1346
; %bb.1147:
	s_add_co_i32 s0, s33, 0x50
	v_dual_mov_b32 v3, v60 :: v_dual_mov_b32 v4, v61
	v_dual_mov_b32 v62, s0 :: v_dual_mov_b32 v2, v41
	;; [unrolled: 1-line block ×3, first 2 shown]
	s_mov_b64 s[8:9], s[52:53]
	s_delay_alu instid0(VALU_DEP_2)
	v_add_nc_u64_e32 v[0:1], src_flat_scratch_base_lo, v[62:63]
	s_mov_b32 s48, 0
	s_swap_pc_i64 s[30:31], s[34:35]
	flat_load_b32 v1, v[42:43]
	s_mov_b32 s17, s36
	s_mov_b32 s0, exec_lo
	s_wait_loadcnt_dscnt 0x0
	v_cmpx_lt_i32_e32 0xff, v1
	s_xor_b32 s18, exec_lo, s0
	s_cbranch_execz .LBB6_1149
; %bb.1148:
	s_get_pc_i64 s[0:1]
	s_add_nc_u64 s[0:1], s[0:1], .str.43@rel64+4
	s_get_pc_i64 s[2:3]
	s_add_nc_u64 s[2:3], s[2:3], .str.44@rel64+4
	s_get_pc_i64 s[4:5]
	s_add_nc_u64 s[4:5], s[4:5], __PRETTY_FUNCTION__._ZN8subgUtil4SubgILi256EE9addNodeOrEii@rel64+4
	v_dual_mov_b32 v0, s0 :: v_dual_mov_b32 v1, s1
	v_dual_mov_b32 v2, s2 :: v_dual_mov_b32 v3, s3
	;; [unrolled: 1-line block ×3, first 2 shown]
	v_mov_b32_e32 v6, s5
	s_get_pc_i64 s[6:7]
	s_add_nc_u64 s[6:7], s[6:7], __assert_fail@rel64+4
	s_mov_b64 s[8:9], s[52:53]
	s_swap_pc_i64 s[30:31], s[6:7]
	s_or_b32 s17, s36, exec_lo
                                        ; implicit-def: $vgpr0
                                        ; implicit-def: $vgpr44
                                        ; implicit-def: $vgpr42_vgpr43
                                        ; implicit-def: $vgpr45
.LBB6_1149:
	s_and_not1_saveexec_b32 s18, s18
	s_cbranch_execz .LBB6_1345
; %bb.1150:
	v_min_i32_e32 v5, v44, v0
	v_max_i32_e32 v4, v44, v0
	s_delay_alu instid0(VALU_DEP_2) | instskip(NEXT) | instid1(VALU_DEP_2)
	v_xor_b32_e32 v1, 1, v5
	v_xor_b32_e32 v38, 1, v4
	s_delay_alu instid0(VALU_DEP_1)
	v_cmp_gt_i32_e64 s0, v1, v38
	s_and_saveexec_b32 s16, s0
	s_cbranch_execz .LBB6_1340
; %bb.1151:
	s_load_b64 s[2:3], s[52:53], 0x50
	v_readfirstlane_b32 s1, v45
	v_mov_b64_e32 v[2:3], 0
	s_delay_alu instid0(VALU_DEP_2)
	v_cmp_eq_u32_e64 s1, s1, v45
	s_and_saveexec_b32 s4, s1
	s_cbranch_execz .LBB6_1157
; %bb.1152:
	v_mov_b32_e32 v6, 0
	s_mov_b32 s5, exec_lo
	s_wait_kmcnt 0x0
	global_load_b64 v[10:11], v6, s[2:3] offset:24 scope:SCOPE_SYS
	s_wait_loadcnt 0x0
	global_inv scope:SCOPE_SYS
	s_clause 0x1
	global_load_b64 v[2:3], v6, s[2:3] offset:40
	global_load_b64 v[8:9], v6, s[2:3]
	s_wait_loadcnt 0x1
	v_and_b32_e32 v2, v2, v10
	v_and_b32_e32 v3, v3, v11
	s_delay_alu instid0(VALU_DEP_1) | instskip(SKIP_1) | instid1(VALU_DEP_1)
	v_mul_u64_e32 v[2:3], 24, v[2:3]
	s_wait_loadcnt 0x0
	v_add_nc_u64_e32 v[2:3], v[8:9], v[2:3]
	global_load_b64 v[8:9], v[2:3], off scope:SCOPE_SYS
	s_wait_xcnt 0x0
	s_wait_loadcnt 0x0
	global_atomic_cmpswap_b64 v[2:3], v6, v[8:11], s[2:3] offset:24 th:TH_ATOMIC_RETURN scope:SCOPE_SYS
	s_wait_loadcnt 0x0
	global_inv scope:SCOPE_SYS
	s_wait_xcnt 0x0
	v_cmpx_ne_u64_e64 v[2:3], v[10:11]
	s_cbranch_execz .LBB6_1156
; %bb.1153:
	s_mov_b32 s6, 0
.LBB6_1154:                             ; =>This Inner Loop Header: Depth=1
	s_sleep 1
	s_clause 0x1
	global_load_b64 v[8:9], v6, s[2:3] offset:40
	global_load_b64 v[12:13], v6, s[2:3]
	v_mov_b64_e32 v[10:11], v[2:3]
	s_wait_loadcnt 0x1
	s_delay_alu instid0(VALU_DEP_1) | instskip(NEXT) | instid1(VALU_DEP_2)
	v_and_b32_e32 v2, v8, v10
	v_and_b32_e32 v7, v9, v11
	s_wait_loadcnt 0x0
	s_delay_alu instid0(VALU_DEP_2) | instskip(NEXT) | instid1(VALU_DEP_1)
	v_mad_nc_u64_u32 v[2:3], v2, 24, v[12:13]
	v_mad_u32 v3, v7, 24, v3
	global_load_b64 v[8:9], v[2:3], off scope:SCOPE_SYS
	s_wait_xcnt 0x0
	s_wait_loadcnt 0x0
	global_atomic_cmpswap_b64 v[2:3], v6, v[8:11], s[2:3] offset:24 th:TH_ATOMIC_RETURN scope:SCOPE_SYS
	s_wait_loadcnt 0x0
	global_inv scope:SCOPE_SYS
	v_cmp_eq_u64_e32 vcc_lo, v[2:3], v[10:11]
	s_or_b32 s6, vcc_lo, s6
	s_wait_xcnt 0x0
	s_and_not1_b32 exec_lo, exec_lo, s6
	s_cbranch_execnz .LBB6_1154
; %bb.1155:
	s_or_b32 exec_lo, exec_lo, s6
.LBB6_1156:
	s_delay_alu instid0(SALU_CYCLE_1)
	s_or_b32 exec_lo, exec_lo, s5
.LBB6_1157:
	s_delay_alu instid0(SALU_CYCLE_1)
	s_or_b32 exec_lo, exec_lo, s4
	v_readfirstlane_b32 s4, v2
	v_mov_b32_e32 v7, 0
	v_readfirstlane_b32 s5, v3
	s_mov_b32 s6, exec_lo
	s_wait_kmcnt 0x0
	s_clause 0x1
	global_load_b64 v[8:9], v7, s[2:3] offset:40
	global_load_b128 v[10:13], v7, s[2:3]
	s_wait_loadcnt 0x1
	v_and_b32_e32 v14, s4, v8
	v_and_b32_e32 v15, s5, v9
	s_delay_alu instid0(VALU_DEP_1) | instskip(SKIP_1) | instid1(VALU_DEP_1)
	v_mul_u64_e32 v[2:3], 24, v[14:15]
	s_wait_loadcnt 0x0
	v_add_nc_u64_e32 v[2:3], v[10:11], v[2:3]
	s_wait_xcnt 0x0
	s_and_saveexec_b32 s7, s1
	s_cbranch_execz .LBB6_1159
; %bb.1158:
	v_mov_b64_e32 v[8:9], 0x100000002
	v_mov_b32_e32 v6, s6
	global_store_b128 v[2:3], v[6:9], off offset:8
.LBB6_1159:
	s_wait_xcnt 0x0
	s_or_b32 exec_lo, exec_lo, s7
	v_lshlrev_b64_e32 v[8:9], 12, v[14:15]
	s_mov_b32 s8, 0
	v_dual_lshlrev_b32 v6, 6, v45 :: v_dual_mov_b32 v14, 33
	s_mov_b32 s10, s8
	s_mov_b32 s11, s8
	;; [unrolled: 1-line block ×3, first 2 shown]
	s_delay_alu instid0(VALU_DEP_2)
	v_add_nc_u64_e32 v[12:13], v[12:13], v[8:9]
	v_mov_b64_e32 v[20:21], s[10:11]
	v_mov_b64_e32 v[18:19], s[8:9]
	v_dual_mov_b32 v15, v7 :: v_dual_mov_b32 v16, v7
	v_mov_b32_e32 v17, v7
	v_readfirstlane_b32 s6, v12
	v_readfirstlane_b32 s7, v13
	s_clause 0x3
	global_store_b128 v6, v[14:17], s[6:7]
	global_store_b128 v6, v[18:21], s[6:7] offset:16
	global_store_b128 v6, v[18:21], s[6:7] offset:32
	;; [unrolled: 1-line block ×3, first 2 shown]
	s_wait_xcnt 0x0
	s_and_saveexec_b32 s6, s1
	s_cbranch_execz .LBB6_1166
; %bb.1160:
	v_dual_mov_b32 v16, 0 :: v_dual_mov_b32 v19, s5
	s_mov_b32 s7, exec_lo
	s_clause 0x1
	global_load_b64 v[20:21], v16, s[2:3] offset:32 scope:SCOPE_SYS
	global_load_b64 v[8:9], v16, s[2:3] offset:40
	s_wait_loadcnt 0x0
	v_dual_mov_b32 v18, s4 :: v_dual_bitop2_b32 v9, s5, v9 bitop3:0x40
	v_and_b32_e32 v8, s4, v8
	s_delay_alu instid0(VALU_DEP_1) | instskip(NEXT) | instid1(VALU_DEP_1)
	v_mul_u64_e32 v[8:9], 24, v[8:9]
	v_add_nc_u64_e32 v[14:15], v[10:11], v[8:9]
	global_store_b64 v[14:15], v[20:21], off
	global_wb scope:SCOPE_SYS
	s_wait_storecnt 0x0
	s_wait_xcnt 0x0
	global_atomic_cmpswap_b64 v[10:11], v16, v[18:21], s[2:3] offset:32 th:TH_ATOMIC_RETURN scope:SCOPE_SYS
	s_wait_loadcnt 0x0
	v_cmpx_ne_u64_e64 v[10:11], v[20:21]
	s_cbranch_execz .LBB6_1162
.LBB6_1161:                             ; =>This Inner Loop Header: Depth=1
	v_dual_mov_b32 v8, s4 :: v_dual_mov_b32 v9, s5
	s_sleep 1
	global_store_b64 v[14:15], v[10:11], off
	global_wb scope:SCOPE_SYS
	s_wait_storecnt 0x0
	s_wait_xcnt 0x0
	global_atomic_cmpswap_b64 v[8:9], v16, v[8:11], s[2:3] offset:32 th:TH_ATOMIC_RETURN scope:SCOPE_SYS
	s_wait_loadcnt 0x0
	v_cmp_eq_u64_e32 vcc_lo, v[8:9], v[10:11]
	v_mov_b64_e32 v[10:11], v[8:9]
	s_or_b32 s8, vcc_lo, s8
	s_delay_alu instid0(SALU_CYCLE_1)
	s_and_not1_b32 exec_lo, exec_lo, s8
	s_cbranch_execnz .LBB6_1161
.LBB6_1162:
	s_or_b32 exec_lo, exec_lo, s7
	v_mov_b32_e32 v11, 0
	s_mov_b32 s8, exec_lo
	s_mov_b32 s7, exec_lo
	v_mbcnt_lo_u32_b32 v10, s8, 0
	global_load_b64 v[8:9], v11, s[2:3] offset:16
	s_wait_xcnt 0x0
	v_cmpx_eq_u32_e32 0, v10
	s_cbranch_execz .LBB6_1164
; %bb.1163:
	s_bcnt1_i32_b32 s8, s8
	s_delay_alu instid0(SALU_CYCLE_1)
	v_mov_b32_e32 v10, s8
	global_wb scope:SCOPE_SYS
	s_wait_loadcnt 0x0
	s_wait_storecnt 0x0
	global_atomic_add_u64 v[8:9], v[10:11], off offset:8 scope:SCOPE_SYS
.LBB6_1164:
	s_wait_xcnt 0x0
	s_or_b32 exec_lo, exec_lo, s7
	s_wait_loadcnt 0x0
	global_load_b64 v[10:11], v[8:9], off offset:16
	s_wait_loadcnt 0x0
	v_cmp_eq_u64_e32 vcc_lo, 0, v[10:11]
	s_cbranch_vccnz .LBB6_1166
; %bb.1165:
	global_load_b32 v8, v[8:9], off offset:24
	s_wait_xcnt 0x0
	v_mov_b32_e32 v9, 0
	s_wait_loadcnt 0x0
	v_readfirstlane_b32 s7, v8
	global_wb scope:SCOPE_SYS
	s_wait_storecnt 0x0
	global_store_b64 v[10:11], v[8:9], off scope:SCOPE_SYS
	s_and_b32 m0, s7, 0xffffff
	s_sendmsg sendmsg(MSG_INTERRUPT)
.LBB6_1166:
	s_wait_xcnt 0x0
	s_or_b32 exec_lo, exec_lo, s6
	v_add_nc_u64_e32 v[8:9], v[12:13], v[6:7]
	s_branch .LBB6_1170
.LBB6_1167:                             ;   in Loop: Header=BB6_1170 Depth=1
	s_wait_xcnt 0x0
	s_or_b32 exec_lo, exec_lo, s6
	s_delay_alu instid0(VALU_DEP_1)
	v_readfirstlane_b32 s6, v7
	s_cmp_eq_u32 s6, 0
	s_cbranch_scc1 .LBB6_1169
; %bb.1168:                             ;   in Loop: Header=BB6_1170 Depth=1
	s_sleep 1
	s_cbranch_execnz .LBB6_1170
	s_branch .LBB6_1172
.LBB6_1169:
	s_branch .LBB6_1172
.LBB6_1170:                             ; =>This Inner Loop Header: Depth=1
	v_mov_b32_e32 v7, 1
	s_and_saveexec_b32 s6, s1
	s_cbranch_execz .LBB6_1167
; %bb.1171:                             ;   in Loop: Header=BB6_1170 Depth=1
	global_load_b32 v7, v[2:3], off offset:20 scope:SCOPE_SYS
	s_wait_loadcnt 0x0
	global_inv scope:SCOPE_SYS
	v_and_b32_e32 v7, 1, v7
	s_branch .LBB6_1167
.LBB6_1172:
	global_load_b64 v[8:9], v[8:9], off
	s_wait_xcnt 0x0
	s_and_saveexec_b32 s6, s1
	s_cbranch_execz .LBB6_1176
; %bb.1173:
	v_mov_b32_e32 v7, 0
	s_clause 0x2
	global_load_b64 v[2:3], v7, s[2:3] offset:40
	global_load_b64 v[14:15], v7, s[2:3] offset:24 scope:SCOPE_SYS
	global_load_b64 v[10:11], v7, s[2:3]
	s_wait_loadcnt 0x2
	v_readfirstlane_b32 s8, v2
	v_readfirstlane_b32 s9, v3
	s_add_nc_u64 s[10:11], s[8:9], 1
	s_delay_alu instid0(SALU_CYCLE_1) | instskip(NEXT) | instid1(SALU_CYCLE_1)
	s_add_nc_u64 s[4:5], s[10:11], s[4:5]
	s_cmp_eq_u64 s[4:5], 0
	s_cselect_b32 s5, s11, s5
	s_cselect_b32 s4, s10, s4
	v_mov_b32_e32 v13, s5
	s_and_b64 s[8:9], s[4:5], s[8:9]
	v_mov_b32_e32 v12, s4
	s_mul_u64 s[8:9], s[8:9], 24
	s_wait_loadcnt 0x0
	v_add_nc_u64_e32 v[2:3], s[8:9], v[10:11]
	global_store_b64 v[2:3], v[14:15], off
	global_wb scope:SCOPE_SYS
	s_wait_storecnt 0x0
	s_wait_xcnt 0x0
	global_atomic_cmpswap_b64 v[12:13], v7, v[12:15], s[2:3] offset:24 th:TH_ATOMIC_RETURN scope:SCOPE_SYS
	s_wait_loadcnt 0x0
	v_cmp_ne_u64_e32 vcc_lo, v[12:13], v[14:15]
	s_and_b32 exec_lo, exec_lo, vcc_lo
	s_cbranch_execz .LBB6_1176
; %bb.1174:
	s_mov_b32 s1, 0
.LBB6_1175:                             ; =>This Inner Loop Header: Depth=1
	v_dual_mov_b32 v10, s4 :: v_dual_mov_b32 v11, s5
	s_sleep 1
	global_store_b64 v[2:3], v[12:13], off
	global_wb scope:SCOPE_SYS
	s_wait_storecnt 0x0
	s_wait_xcnt 0x0
	global_atomic_cmpswap_b64 v[10:11], v7, v[10:13], s[2:3] offset:24 th:TH_ATOMIC_RETURN scope:SCOPE_SYS
	s_wait_loadcnt 0x0
	v_cmp_eq_u64_e32 vcc_lo, v[10:11], v[12:13]
	v_mov_b64_e32 v[12:13], v[10:11]
	s_or_b32 s1, vcc_lo, s1
	s_delay_alu instid0(SALU_CYCLE_1)
	s_and_not1_b32 exec_lo, exec_lo, s1
	s_cbranch_execnz .LBB6_1175
.LBB6_1176:
	s_or_b32 exec_lo, exec_lo, s6
	s_get_pc_i64 s[4:5]
	s_add_nc_u64 s[4:5], s[4:5], .str.45@rel64+4
	s_delay_alu instid0(SALU_CYCLE_1)
	s_cmp_lg_u64 s[4:5], 0
	s_cbranch_scc0 .LBB6_1262
; %bb.1177:
	v_mov_b64_e32 v[16:17], 0x100000002
	s_wait_loadcnt 0x0
	v_dual_mov_b32 v15, 0 :: v_dual_bitop2_b32 v2, 2, v8 bitop3:0x40
	v_dual_mov_b32 v11, v9 :: v_dual_bitop2_b32 v10, -3, v8 bitop3:0x40
	s_mov_b64 s[6:7], 7
	s_branch .LBB6_1179
.LBB6_1178:                             ;   in Loop: Header=BB6_1179 Depth=1
	s_or_b32 exec_lo, exec_lo, s12
	s_sub_nc_u64 s[6:7], s[6:7], s[8:9]
	s_add_nc_u64 s[4:5], s[4:5], s[8:9]
	s_cmp_lg_u64 s[6:7], 0
	s_cbranch_scc0 .LBB6_1261
.LBB6_1179:                             ; =>This Loop Header: Depth=1
                                        ;     Child Loop BB6_1182 Depth 2
                                        ;     Child Loop BB6_1190 Depth 2
	;; [unrolled: 1-line block ×11, first 2 shown]
	v_min_u64 v[12:13], s[6:7], 56
	v_cmp_gt_u64_e64 s1, s[6:7], 7
	s_and_b32 vcc_lo, exec_lo, s1
	v_readfirstlane_b32 s8, v12
	v_readfirstlane_b32 s9, v13
	s_cbranch_vccnz .LBB6_1184
; %bb.1180:                             ;   in Loop: Header=BB6_1179 Depth=1
	v_mov_b64_e32 v[12:13], 0
	s_cmp_eq_u64 s[6:7], 0
	s_cbranch_scc1 .LBB6_1183
; %bb.1181:                             ;   in Loop: Header=BB6_1179 Depth=1
	s_mov_b64 s[10:11], 0
	s_mov_b64 s[12:13], 0
.LBB6_1182:                             ;   Parent Loop BB6_1179 Depth=1
                                        ; =>  This Inner Loop Header: Depth=2
	s_wait_xcnt 0x0
	s_add_nc_u64 s[14:15], s[4:5], s[12:13]
	s_add_nc_u64 s[12:13], s[12:13], 1
	global_load_u8 v3, v15, s[14:15]
	s_cmp_lg_u32 s8, s12
	s_wait_loadcnt 0x0
	v_and_b32_e32 v14, 0xffff, v3
	s_delay_alu instid0(VALU_DEP_1) | instskip(SKIP_1) | instid1(VALU_DEP_1)
	v_lshlrev_b64_e32 v[18:19], s10, v[14:15]
	s_add_nc_u64 s[10:11], s[10:11], 8
	v_or_b32_e32 v12, v18, v12
	s_delay_alu instid0(VALU_DEP_2)
	v_or_b32_e32 v13, v19, v13
	s_cbranch_scc1 .LBB6_1182
.LBB6_1183:                             ;   in Loop: Header=BB6_1179 Depth=1
	s_mov_b32 s1, 0
	s_mov_b64 s[12:13], s[4:5]
	s_branch .LBB6_1185
.LBB6_1184:                             ;   in Loop: Header=BB6_1179 Depth=1
	s_add_nc_u64 s[12:13], s[4:5], 8
	s_mov_b32 s1, -1
.LBB6_1185:                             ;   in Loop: Header=BB6_1179 Depth=1
	s_delay_alu instid0(SALU_CYCLE_1)
	s_and_not1_b32 vcc_lo, exec_lo, s1
	s_mov_b32 s1, 0
	s_cbranch_vccnz .LBB6_1187
; %bb.1186:                             ;   in Loop: Header=BB6_1179 Depth=1
	global_load_b64 v[12:13], v15, s[4:5]
	s_add_co_i32 s1, s8, -8
.LBB6_1187:                             ;   in Loop: Header=BB6_1179 Depth=1
	s_delay_alu instid0(SALU_CYCLE_1)
	s_cmp_gt_u32 s1, 7
	s_cbranch_scc1 .LBB6_1192
; %bb.1188:                             ;   in Loop: Header=BB6_1179 Depth=1
	v_mov_b64_e32 v[18:19], 0
	s_cmp_eq_u32 s1, 0
	s_cbranch_scc1 .LBB6_1191
; %bb.1189:                             ;   in Loop: Header=BB6_1179 Depth=1
	s_mov_b64 s[10:11], 0
	s_wait_xcnt 0x0
	s_mov_b64 s[14:15], 0
.LBB6_1190:                             ;   Parent Loop BB6_1179 Depth=1
                                        ; =>  This Inner Loop Header: Depth=2
	s_wait_xcnt 0x0
	s_add_nc_u64 s[20:21], s[12:13], s[14:15]
	s_add_nc_u64 s[14:15], s[14:15], 1
	global_load_u8 v3, v15, s[20:21]
	s_cmp_lg_u32 s1, s14
	s_wait_loadcnt 0x0
	v_and_b32_e32 v14, 0xffff, v3
	s_delay_alu instid0(VALU_DEP_1) | instskip(SKIP_1) | instid1(VALU_DEP_1)
	v_lshlrev_b64_e32 v[20:21], s10, v[14:15]
	s_add_nc_u64 s[10:11], s[10:11], 8
	v_or_b32_e32 v18, v20, v18
	s_delay_alu instid0(VALU_DEP_2)
	v_or_b32_e32 v19, v21, v19
	s_cbranch_scc1 .LBB6_1190
.LBB6_1191:                             ;   in Loop: Header=BB6_1179 Depth=1
	s_wait_xcnt 0x0
	s_mov_b32 s14, 0
	s_mov_b64 s[10:11], s[12:13]
	s_branch .LBB6_1193
.LBB6_1192:                             ;   in Loop: Header=BB6_1179 Depth=1
	s_add_nc_u64 s[10:11], s[12:13], 8
	s_wait_xcnt 0x0
	s_mov_b32 s14, -1
                                        ; implicit-def: $vgpr18_vgpr19
.LBB6_1193:                             ;   in Loop: Header=BB6_1179 Depth=1
	s_delay_alu instid0(SALU_CYCLE_1)
	s_and_not1_b32 vcc_lo, exec_lo, s14
	s_mov_b32 s19, 0
	s_cbranch_vccnz .LBB6_1195
; %bb.1194:                             ;   in Loop: Header=BB6_1179 Depth=1
	global_load_b64 v[18:19], v15, s[12:13]
	s_add_co_i32 s19, s1, -8
.LBB6_1195:                             ;   in Loop: Header=BB6_1179 Depth=1
	s_delay_alu instid0(SALU_CYCLE_1)
	s_cmp_gt_u32 s19, 7
	s_cbranch_scc1 .LBB6_1200
; %bb.1196:                             ;   in Loop: Header=BB6_1179 Depth=1
	v_mov_b64_e32 v[20:21], 0
	s_cmp_eq_u32 s19, 0
	s_cbranch_scc1 .LBB6_1199
; %bb.1197:                             ;   in Loop: Header=BB6_1179 Depth=1
	s_wait_xcnt 0x0
	s_mov_b64 s[12:13], 0
	s_mov_b64 s[14:15], 0
.LBB6_1198:                             ;   Parent Loop BB6_1179 Depth=1
                                        ; =>  This Inner Loop Header: Depth=2
	s_wait_xcnt 0x0
	s_add_nc_u64 s[20:21], s[10:11], s[14:15]
	s_add_nc_u64 s[14:15], s[14:15], 1
	global_load_u8 v3, v15, s[20:21]
	s_cmp_lg_u32 s19, s14
	s_wait_loadcnt 0x0
	v_and_b32_e32 v14, 0xffff, v3
	s_delay_alu instid0(VALU_DEP_1) | instskip(SKIP_1) | instid1(VALU_DEP_1)
	v_lshlrev_b64_e32 v[22:23], s12, v[14:15]
	s_add_nc_u64 s[12:13], s[12:13], 8
	v_or_b32_e32 v20, v22, v20
	s_delay_alu instid0(VALU_DEP_2)
	v_or_b32_e32 v21, v23, v21
	s_cbranch_scc1 .LBB6_1198
.LBB6_1199:                             ;   in Loop: Header=BB6_1179 Depth=1
	s_mov_b32 s1, 0
	s_wait_xcnt 0x0
	s_mov_b64 s[12:13], s[10:11]
	s_branch .LBB6_1201
.LBB6_1200:                             ;   in Loop: Header=BB6_1179 Depth=1
	s_wait_xcnt 0x0
	s_add_nc_u64 s[12:13], s[10:11], 8
	s_mov_b32 s1, -1
.LBB6_1201:                             ;   in Loop: Header=BB6_1179 Depth=1
	s_delay_alu instid0(SALU_CYCLE_1)
	s_and_not1_b32 vcc_lo, exec_lo, s1
	s_mov_b32 s1, 0
	s_cbranch_vccnz .LBB6_1203
; %bb.1202:                             ;   in Loop: Header=BB6_1179 Depth=1
	global_load_b64 v[20:21], v15, s[10:11]
	s_add_co_i32 s1, s19, -8
.LBB6_1203:                             ;   in Loop: Header=BB6_1179 Depth=1
	s_delay_alu instid0(SALU_CYCLE_1)
	s_cmp_gt_u32 s1, 7
	s_cbranch_scc1 .LBB6_1208
; %bb.1204:                             ;   in Loop: Header=BB6_1179 Depth=1
	v_mov_b64_e32 v[22:23], 0
	s_cmp_eq_u32 s1, 0
	s_cbranch_scc1 .LBB6_1207
; %bb.1205:                             ;   in Loop: Header=BB6_1179 Depth=1
	s_wait_xcnt 0x0
	s_mov_b64 s[10:11], 0
	s_mov_b64 s[14:15], 0
.LBB6_1206:                             ;   Parent Loop BB6_1179 Depth=1
                                        ; =>  This Inner Loop Header: Depth=2
	s_wait_xcnt 0x0
	s_add_nc_u64 s[20:21], s[12:13], s[14:15]
	s_add_nc_u64 s[14:15], s[14:15], 1
	global_load_u8 v3, v15, s[20:21]
	s_cmp_lg_u32 s1, s14
	s_wait_loadcnt 0x0
	v_and_b32_e32 v14, 0xffff, v3
	s_delay_alu instid0(VALU_DEP_1) | instskip(SKIP_1) | instid1(VALU_DEP_1)
	v_lshlrev_b64_e32 v[24:25], s10, v[14:15]
	s_add_nc_u64 s[10:11], s[10:11], 8
	v_or_b32_e32 v22, v24, v22
	s_delay_alu instid0(VALU_DEP_2)
	v_or_b32_e32 v23, v25, v23
	s_cbranch_scc1 .LBB6_1206
.LBB6_1207:                             ;   in Loop: Header=BB6_1179 Depth=1
	s_mov_b32 s14, 0
	s_wait_xcnt 0x0
	s_mov_b64 s[10:11], s[12:13]
	s_branch .LBB6_1209
.LBB6_1208:                             ;   in Loop: Header=BB6_1179 Depth=1
	s_wait_xcnt 0x0
	s_add_nc_u64 s[10:11], s[12:13], 8
	s_mov_b32 s14, -1
                                        ; implicit-def: $vgpr22_vgpr23
.LBB6_1209:                             ;   in Loop: Header=BB6_1179 Depth=1
	s_delay_alu instid0(SALU_CYCLE_1)
	s_and_not1_b32 vcc_lo, exec_lo, s14
	s_mov_b32 s19, 0
	s_cbranch_vccnz .LBB6_1211
; %bb.1210:                             ;   in Loop: Header=BB6_1179 Depth=1
	global_load_b64 v[22:23], v15, s[12:13]
	s_add_co_i32 s19, s1, -8
.LBB6_1211:                             ;   in Loop: Header=BB6_1179 Depth=1
	s_delay_alu instid0(SALU_CYCLE_1)
	s_cmp_gt_u32 s19, 7
	s_cbranch_scc1 .LBB6_1216
; %bb.1212:                             ;   in Loop: Header=BB6_1179 Depth=1
	v_mov_b64_e32 v[24:25], 0
	s_cmp_eq_u32 s19, 0
	s_cbranch_scc1 .LBB6_1215
; %bb.1213:                             ;   in Loop: Header=BB6_1179 Depth=1
	s_wait_xcnt 0x0
	s_mov_b64 s[12:13], 0
	s_mov_b64 s[14:15], 0
.LBB6_1214:                             ;   Parent Loop BB6_1179 Depth=1
                                        ; =>  This Inner Loop Header: Depth=2
	s_wait_xcnt 0x0
	s_add_nc_u64 s[20:21], s[10:11], s[14:15]
	s_add_nc_u64 s[14:15], s[14:15], 1
	global_load_u8 v3, v15, s[20:21]
	s_cmp_lg_u32 s19, s14
	s_wait_loadcnt 0x0
	v_and_b32_e32 v14, 0xffff, v3
	s_delay_alu instid0(VALU_DEP_1) | instskip(SKIP_1) | instid1(VALU_DEP_1)
	v_lshlrev_b64_e32 v[26:27], s12, v[14:15]
	s_add_nc_u64 s[12:13], s[12:13], 8
	v_or_b32_e32 v24, v26, v24
	s_delay_alu instid0(VALU_DEP_2)
	v_or_b32_e32 v25, v27, v25
	s_cbranch_scc1 .LBB6_1214
.LBB6_1215:                             ;   in Loop: Header=BB6_1179 Depth=1
	s_mov_b32 s1, 0
	s_wait_xcnt 0x0
	s_mov_b64 s[12:13], s[10:11]
	s_branch .LBB6_1217
.LBB6_1216:                             ;   in Loop: Header=BB6_1179 Depth=1
	s_wait_xcnt 0x0
	s_add_nc_u64 s[12:13], s[10:11], 8
	s_mov_b32 s1, -1
.LBB6_1217:                             ;   in Loop: Header=BB6_1179 Depth=1
	s_delay_alu instid0(SALU_CYCLE_1)
	s_and_not1_b32 vcc_lo, exec_lo, s1
	s_mov_b32 s1, 0
	s_cbranch_vccnz .LBB6_1219
; %bb.1218:                             ;   in Loop: Header=BB6_1179 Depth=1
	global_load_b64 v[24:25], v15, s[10:11]
	s_add_co_i32 s1, s19, -8
.LBB6_1219:                             ;   in Loop: Header=BB6_1179 Depth=1
	s_delay_alu instid0(SALU_CYCLE_1)
	s_cmp_gt_u32 s1, 7
	s_cbranch_scc1 .LBB6_1224
; %bb.1220:                             ;   in Loop: Header=BB6_1179 Depth=1
	v_mov_b64_e32 v[26:27], 0
	s_cmp_eq_u32 s1, 0
	s_cbranch_scc1 .LBB6_1223
; %bb.1221:                             ;   in Loop: Header=BB6_1179 Depth=1
	s_wait_xcnt 0x0
	s_mov_b64 s[10:11], 0
	s_mov_b64 s[14:15], 0
.LBB6_1222:                             ;   Parent Loop BB6_1179 Depth=1
                                        ; =>  This Inner Loop Header: Depth=2
	s_wait_xcnt 0x0
	s_add_nc_u64 s[20:21], s[12:13], s[14:15]
	s_add_nc_u64 s[14:15], s[14:15], 1
	global_load_u8 v3, v15, s[20:21]
	s_cmp_lg_u32 s1, s14
	s_wait_loadcnt 0x0
	v_and_b32_e32 v14, 0xffff, v3
	s_delay_alu instid0(VALU_DEP_1) | instskip(SKIP_1) | instid1(VALU_DEP_1)
	v_lshlrev_b64_e32 v[28:29], s10, v[14:15]
	s_add_nc_u64 s[10:11], s[10:11], 8
	v_or_b32_e32 v26, v28, v26
	s_delay_alu instid0(VALU_DEP_2)
	v_or_b32_e32 v27, v29, v27
	s_cbranch_scc1 .LBB6_1222
.LBB6_1223:                             ;   in Loop: Header=BB6_1179 Depth=1
	s_mov_b32 s14, 0
	s_wait_xcnt 0x0
	s_mov_b64 s[10:11], s[12:13]
	s_branch .LBB6_1225
.LBB6_1224:                             ;   in Loop: Header=BB6_1179 Depth=1
	s_wait_xcnt 0x0
	s_add_nc_u64 s[10:11], s[12:13], 8
	s_mov_b32 s14, -1
                                        ; implicit-def: $vgpr26_vgpr27
.LBB6_1225:                             ;   in Loop: Header=BB6_1179 Depth=1
	s_delay_alu instid0(SALU_CYCLE_1)
	s_and_not1_b32 vcc_lo, exec_lo, s14
	s_mov_b32 s19, 0
	s_cbranch_vccnz .LBB6_1227
; %bb.1226:                             ;   in Loop: Header=BB6_1179 Depth=1
	global_load_b64 v[26:27], v15, s[12:13]
	s_add_co_i32 s19, s1, -8
.LBB6_1227:                             ;   in Loop: Header=BB6_1179 Depth=1
	s_delay_alu instid0(SALU_CYCLE_1)
	s_cmp_gt_u32 s19, 7
	s_cbranch_scc1 .LBB6_1232
; %bb.1228:                             ;   in Loop: Header=BB6_1179 Depth=1
	v_mov_b64_e32 v[28:29], 0
	s_cmp_eq_u32 s19, 0
	s_cbranch_scc1 .LBB6_1231
; %bb.1229:                             ;   in Loop: Header=BB6_1179 Depth=1
	s_wait_xcnt 0x0
	s_mov_b64 s[12:13], 0
	s_mov_b64 s[14:15], s[10:11]
.LBB6_1230:                             ;   Parent Loop BB6_1179 Depth=1
                                        ; =>  This Inner Loop Header: Depth=2
	global_load_u8 v3, v15, s[14:15]
	s_add_co_i32 s19, s19, -1
	s_wait_xcnt 0x0
	s_add_nc_u64 s[14:15], s[14:15], 1
	s_cmp_lg_u32 s19, 0
	s_wait_loadcnt 0x0
	v_and_b32_e32 v14, 0xffff, v3
	s_delay_alu instid0(VALU_DEP_1) | instskip(SKIP_1) | instid1(VALU_DEP_1)
	v_lshlrev_b64_e32 v[30:31], s12, v[14:15]
	s_add_nc_u64 s[12:13], s[12:13], 8
	v_or_b32_e32 v28, v30, v28
	s_delay_alu instid0(VALU_DEP_2)
	v_or_b32_e32 v29, v31, v29
	s_cbranch_scc1 .LBB6_1230
.LBB6_1231:                             ;   in Loop: Header=BB6_1179 Depth=1
	s_mov_b32 s1, 0
	s_branch .LBB6_1233
.LBB6_1232:                             ;   in Loop: Header=BB6_1179 Depth=1
	s_mov_b32 s1, -1
.LBB6_1233:                             ;   in Loop: Header=BB6_1179 Depth=1
	s_delay_alu instid0(SALU_CYCLE_1)
	s_and_not1_b32 vcc_lo, exec_lo, s1
	s_cbranch_vccnz .LBB6_1235
; %bb.1234:                             ;   in Loop: Header=BB6_1179 Depth=1
	global_load_b64 v[28:29], v15, s[10:11]
.LBB6_1235:                             ;   in Loop: Header=BB6_1179 Depth=1
	v_readfirstlane_b32 s1, v45
	v_mov_b64_e32 v[34:35], 0
	s_delay_alu instid0(VALU_DEP_2)
	v_cmp_eq_u32_e64 s1, s1, v45
	s_wait_xcnt 0x0
	s_and_saveexec_b32 s10, s1
	s_cbranch_execz .LBB6_1241
; %bb.1236:                             ;   in Loop: Header=BB6_1179 Depth=1
	global_load_b64 v[32:33], v15, s[2:3] offset:24 scope:SCOPE_SYS
	s_wait_loadcnt 0x0
	global_inv scope:SCOPE_SYS
	s_clause 0x1
	global_load_b64 v[30:31], v15, s[2:3] offset:40
	global_load_b64 v[34:35], v15, s[2:3]
	s_mov_b32 s11, exec_lo
	s_wait_loadcnt 0x1
	v_and_b32_e32 v30, v30, v32
	v_and_b32_e32 v31, v31, v33
	s_delay_alu instid0(VALU_DEP_1) | instskip(SKIP_1) | instid1(VALU_DEP_1)
	v_mul_u64_e32 v[30:31], 24, v[30:31]
	s_wait_loadcnt 0x0
	v_add_nc_u64_e32 v[30:31], v[34:35], v[30:31]
	global_load_b64 v[30:31], v[30:31], off scope:SCOPE_SYS
	s_wait_xcnt 0x0
	s_wait_loadcnt 0x0
	global_atomic_cmpswap_b64 v[34:35], v15, v[30:33], s[2:3] offset:24 th:TH_ATOMIC_RETURN scope:SCOPE_SYS
	s_wait_loadcnt 0x0
	global_inv scope:SCOPE_SYS
	s_wait_xcnt 0x0
	v_cmpx_ne_u64_e64 v[34:35], v[32:33]
	s_cbranch_execz .LBB6_1240
; %bb.1237:                             ;   in Loop: Header=BB6_1179 Depth=1
	s_mov_b32 s12, 0
.LBB6_1238:                             ;   Parent Loop BB6_1179 Depth=1
                                        ; =>  This Inner Loop Header: Depth=2
	s_sleep 1
	s_clause 0x1
	global_load_b64 v[30:31], v15, s[2:3] offset:40
	global_load_b64 v[36:37], v15, s[2:3]
	v_mov_b64_e32 v[32:33], v[34:35]
	s_wait_loadcnt 0x1
	s_delay_alu instid0(VALU_DEP_1) | instskip(SKIP_1) | instid1(VALU_DEP_1)
	v_and_b32_e32 v3, v30, v32
	s_wait_loadcnt 0x0
	v_mad_nc_u64_u32 v[34:35], v3, 24, v[36:37]
	s_delay_alu instid0(VALU_DEP_3) | instskip(NEXT) | instid1(VALU_DEP_1)
	v_and_b32_e32 v3, v31, v33
	v_mad_u32 v35, v3, 24, v35
	global_load_b64 v[30:31], v[34:35], off scope:SCOPE_SYS
	s_wait_xcnt 0x0
	s_wait_loadcnt 0x0
	global_atomic_cmpswap_b64 v[34:35], v15, v[30:33], s[2:3] offset:24 th:TH_ATOMIC_RETURN scope:SCOPE_SYS
	s_wait_loadcnt 0x0
	global_inv scope:SCOPE_SYS
	v_cmp_eq_u64_e32 vcc_lo, v[34:35], v[32:33]
	s_or_b32 s12, vcc_lo, s12
	s_wait_xcnt 0x0
	s_and_not1_b32 exec_lo, exec_lo, s12
	s_cbranch_execnz .LBB6_1238
; %bb.1239:                             ;   in Loop: Header=BB6_1179 Depth=1
	s_or_b32 exec_lo, exec_lo, s12
.LBB6_1240:                             ;   in Loop: Header=BB6_1179 Depth=1
	s_delay_alu instid0(SALU_CYCLE_1)
	s_or_b32 exec_lo, exec_lo, s11
.LBB6_1241:                             ;   in Loop: Header=BB6_1179 Depth=1
	s_delay_alu instid0(SALU_CYCLE_1)
	s_or_b32 exec_lo, exec_lo, s10
	s_clause 0x1
	global_load_b64 v[36:37], v15, s[2:3] offset:40
	global_load_b128 v[30:33], v15, s[2:3]
	v_readfirstlane_b32 s10, v34
	v_readfirstlane_b32 s11, v35
	s_mov_b32 s12, exec_lo
	s_wait_loadcnt 0x1
	v_and_b32_e32 v36, s10, v36
	v_and_b32_e32 v37, s11, v37
	s_delay_alu instid0(VALU_DEP_1) | instskip(SKIP_1) | instid1(VALU_DEP_1)
	v_mul_u64_e32 v[34:35], 24, v[36:37]
	s_wait_loadcnt 0x0
	v_add_nc_u64_e32 v[34:35], v[30:31], v[34:35]
	s_wait_xcnt 0x0
	s_and_saveexec_b32 s13, s1
	s_cbranch_execz .LBB6_1243
; %bb.1242:                             ;   in Loop: Header=BB6_1179 Depth=1
	v_mov_b32_e32 v14, s12
	global_store_b128 v[34:35], v[14:17], off offset:8
.LBB6_1243:                             ;   in Loop: Header=BB6_1179 Depth=1
	s_wait_xcnt 0x0
	s_or_b32 exec_lo, exec_lo, s13
	v_cmp_lt_u64_e64 vcc_lo, s[6:7], 57
	v_lshlrev_b64_e32 v[36:37], 12, v[36:37]
	v_and_b32_e32 v7, 0xffffff1f, v10
	s_lshl_b32 s12, s8, 2
	s_delay_alu instid0(SALU_CYCLE_1) | instskip(SKIP_1) | instid1(VALU_DEP_3)
	s_add_co_i32 s12, s12, 28
	v_cndmask_b32_e32 v3, 0, v2, vcc_lo
	v_add_nc_u64_e32 v[32:33], v[32:33], v[36:37]
	s_delay_alu instid0(VALU_DEP_2) | instskip(NEXT) | instid1(VALU_DEP_2)
	v_or_b32_e32 v3, v7, v3
	v_readfirstlane_b32 s13, v33
	s_delay_alu instid0(VALU_DEP_2) | instskip(NEXT) | instid1(VALU_DEP_4)
	v_and_or_b32 v10, 0x1e0, s12, v3
	v_readfirstlane_b32 s12, v32
	s_clause 0x3
	global_store_b128 v6, v[10:13], s[12:13]
	global_store_b128 v6, v[18:21], s[12:13] offset:16
	global_store_b128 v6, v[22:25], s[12:13] offset:32
	;; [unrolled: 1-line block ×3, first 2 shown]
	s_wait_xcnt 0x0
	s_and_saveexec_b32 s12, s1
	s_cbranch_execz .LBB6_1251
; %bb.1244:                             ;   in Loop: Header=BB6_1179 Depth=1
	s_clause 0x1
	global_load_b64 v[22:23], v15, s[2:3] offset:32 scope:SCOPE_SYS
	global_load_b64 v[10:11], v15, s[2:3] offset:40
	s_mov_b32 s13, exec_lo
	v_dual_mov_b32 v20, s10 :: v_dual_mov_b32 v21, s11
	s_wait_loadcnt 0x0
	v_and_b32_e32 v11, s11, v11
	v_and_b32_e32 v10, s10, v10
	s_delay_alu instid0(VALU_DEP_1) | instskip(NEXT) | instid1(VALU_DEP_1)
	v_mul_u64_e32 v[10:11], 24, v[10:11]
	v_add_nc_u64_e32 v[18:19], v[30:31], v[10:11]
	global_store_b64 v[18:19], v[22:23], off
	global_wb scope:SCOPE_SYS
	s_wait_storecnt 0x0
	s_wait_xcnt 0x0
	global_atomic_cmpswap_b64 v[12:13], v15, v[20:23], s[2:3] offset:32 th:TH_ATOMIC_RETURN scope:SCOPE_SYS
	s_wait_loadcnt 0x0
	v_cmpx_ne_u64_e64 v[12:13], v[22:23]
	s_cbranch_execz .LBB6_1247
; %bb.1245:                             ;   in Loop: Header=BB6_1179 Depth=1
	s_mov_b32 s14, 0
.LBB6_1246:                             ;   Parent Loop BB6_1179 Depth=1
                                        ; =>  This Inner Loop Header: Depth=2
	v_dual_mov_b32 v10, s10 :: v_dual_mov_b32 v11, s11
	s_sleep 1
	global_store_b64 v[18:19], v[12:13], off
	global_wb scope:SCOPE_SYS
	s_wait_storecnt 0x0
	s_wait_xcnt 0x0
	global_atomic_cmpswap_b64 v[10:11], v15, v[10:13], s[2:3] offset:32 th:TH_ATOMIC_RETURN scope:SCOPE_SYS
	s_wait_loadcnt 0x0
	v_cmp_eq_u64_e32 vcc_lo, v[10:11], v[12:13]
	v_mov_b64_e32 v[12:13], v[10:11]
	s_or_b32 s14, vcc_lo, s14
	s_delay_alu instid0(SALU_CYCLE_1)
	s_and_not1_b32 exec_lo, exec_lo, s14
	s_cbranch_execnz .LBB6_1246
.LBB6_1247:                             ;   in Loop: Header=BB6_1179 Depth=1
	s_or_b32 exec_lo, exec_lo, s13
	global_load_b64 v[10:11], v15, s[2:3] offset:16
	s_mov_b32 s14, exec_lo
	s_mov_b32 s13, exec_lo
	v_mbcnt_lo_u32_b32 v3, s14, 0
	s_wait_xcnt 0x0
	s_delay_alu instid0(VALU_DEP_1)
	v_cmpx_eq_u32_e32 0, v3
	s_cbranch_execz .LBB6_1249
; %bb.1248:                             ;   in Loop: Header=BB6_1179 Depth=1
	s_bcnt1_i32_b32 s14, s14
	s_delay_alu instid0(SALU_CYCLE_1)
	v_mov_b32_e32 v14, s14
	global_wb scope:SCOPE_SYS
	s_wait_loadcnt 0x0
	s_wait_storecnt 0x0
	global_atomic_add_u64 v[10:11], v[14:15], off offset:8 scope:SCOPE_SYS
.LBB6_1249:                             ;   in Loop: Header=BB6_1179 Depth=1
	s_wait_xcnt 0x0
	s_or_b32 exec_lo, exec_lo, s13
	s_wait_loadcnt 0x0
	global_load_b64 v[12:13], v[10:11], off offset:16
	s_wait_loadcnt 0x0
	v_cmp_eq_u64_e32 vcc_lo, 0, v[12:13]
	s_cbranch_vccnz .LBB6_1251
; %bb.1250:                             ;   in Loop: Header=BB6_1179 Depth=1
	global_load_b32 v14, v[10:11], off offset:24
	s_wait_loadcnt 0x0
	v_readfirstlane_b32 s13, v14
	global_wb scope:SCOPE_SYS
	s_wait_storecnt 0x0
	s_wait_xcnt 0x0
	global_store_b64 v[12:13], v[14:15], off scope:SCOPE_SYS
	s_and_b32 m0, s13, 0xffffff
	s_sendmsg sendmsg(MSG_INTERRUPT)
.LBB6_1251:                             ;   in Loop: Header=BB6_1179 Depth=1
	s_wait_xcnt 0x0
	s_or_b32 exec_lo, exec_lo, s12
	v_mov_b32_e32 v7, v15
	s_delay_alu instid0(VALU_DEP_1)
	v_add_nc_u64_e32 v[10:11], v[32:33], v[6:7]
	s_branch .LBB6_1255
.LBB6_1252:                             ;   in Loop: Header=BB6_1255 Depth=2
	s_wait_xcnt 0x0
	s_or_b32 exec_lo, exec_lo, s12
	s_delay_alu instid0(VALU_DEP_1)
	v_readfirstlane_b32 s12, v3
	s_cmp_eq_u32 s12, 0
	s_cbranch_scc1 .LBB6_1254
; %bb.1253:                             ;   in Loop: Header=BB6_1255 Depth=2
	s_sleep 1
	s_cbranch_execnz .LBB6_1255
	s_branch .LBB6_1257
.LBB6_1254:                             ;   in Loop: Header=BB6_1179 Depth=1
	s_branch .LBB6_1257
.LBB6_1255:                             ;   Parent Loop BB6_1179 Depth=1
                                        ; =>  This Inner Loop Header: Depth=2
	v_mov_b32_e32 v3, 1
	s_and_saveexec_b32 s12, s1
	s_cbranch_execz .LBB6_1252
; %bb.1256:                             ;   in Loop: Header=BB6_1255 Depth=2
	global_load_b32 v3, v[34:35], off offset:20 scope:SCOPE_SYS
	s_wait_loadcnt 0x0
	global_inv scope:SCOPE_SYS
	v_and_b32_e32 v3, 1, v3
	s_branch .LBB6_1252
.LBB6_1257:                             ;   in Loop: Header=BB6_1179 Depth=1
	global_load_b64 v[10:11], v[10:11], off
	s_wait_xcnt 0x0
	s_and_saveexec_b32 s12, s1
	s_cbranch_execz .LBB6_1178
; %bb.1258:                             ;   in Loop: Header=BB6_1179 Depth=1
	s_clause 0x2
	global_load_b64 v[12:13], v15, s[2:3] offset:40
	global_load_b64 v[22:23], v15, s[2:3] offset:24 scope:SCOPE_SYS
	global_load_b64 v[18:19], v15, s[2:3]
	s_wait_loadcnt 0x2
	v_readfirstlane_b32 s14, v12
	v_readfirstlane_b32 s15, v13
	s_add_nc_u64 s[20:21], s[14:15], 1
	s_delay_alu instid0(SALU_CYCLE_1) | instskip(NEXT) | instid1(SALU_CYCLE_1)
	s_add_nc_u64 s[10:11], s[20:21], s[10:11]
	s_cmp_eq_u64 s[10:11], 0
	s_cselect_b32 s11, s21, s11
	s_cselect_b32 s10, s20, s10
	s_delay_alu instid0(SALU_CYCLE_1) | instskip(SKIP_1) | instid1(SALU_CYCLE_1)
	v_dual_mov_b32 v21, s11 :: v_dual_mov_b32 v20, s10
	s_and_b64 s[14:15], s[10:11], s[14:15]
	s_mul_u64 s[14:15], s[14:15], 24
	s_wait_loadcnt 0x0
	v_add_nc_u64_e32 v[12:13], s[14:15], v[18:19]
	global_store_b64 v[12:13], v[22:23], off
	global_wb scope:SCOPE_SYS
	s_wait_storecnt 0x0
	s_wait_xcnt 0x0
	global_atomic_cmpswap_b64 v[20:21], v15, v[20:23], s[2:3] offset:24 th:TH_ATOMIC_RETURN scope:SCOPE_SYS
	s_wait_loadcnt 0x0
	v_cmp_ne_u64_e32 vcc_lo, v[20:21], v[22:23]
	s_and_b32 exec_lo, exec_lo, vcc_lo
	s_cbranch_execz .LBB6_1178
; %bb.1259:                             ;   in Loop: Header=BB6_1179 Depth=1
	s_mov_b32 s1, 0
.LBB6_1260:                             ;   Parent Loop BB6_1179 Depth=1
                                        ; =>  This Inner Loop Header: Depth=2
	v_dual_mov_b32 v18, s10 :: v_dual_mov_b32 v19, s11
	s_sleep 1
	global_store_b64 v[12:13], v[20:21], off
	global_wb scope:SCOPE_SYS
	s_wait_storecnt 0x0
	s_wait_xcnt 0x0
	global_atomic_cmpswap_b64 v[18:19], v15, v[18:21], s[2:3] offset:24 th:TH_ATOMIC_RETURN scope:SCOPE_SYS
	s_wait_loadcnt 0x0
	v_cmp_eq_u64_e32 vcc_lo, v[18:19], v[20:21]
	v_mov_b64_e32 v[20:21], v[18:19]
	s_or_b32 s1, vcc_lo, s1
	s_delay_alu instid0(SALU_CYCLE_1)
	s_and_not1_b32 exec_lo, exec_lo, s1
	s_cbranch_execnz .LBB6_1260
	s_branch .LBB6_1178
.LBB6_1261:
	s_mov_b32 s1, 0
	s_branch .LBB6_1263
.LBB6_1262:
	s_mov_b32 s1, -1
                                        ; implicit-def: $vgpr10_vgpr11
.LBB6_1263:
	s_delay_alu instid0(SALU_CYCLE_1)
	s_and_b32 vcc_lo, exec_lo, s1
	s_cbranch_vccz .LBB6_1290
; %bb.1264:
	v_readfirstlane_b32 s1, v45
	v_mov_b64_e32 v[2:3], 0
	s_delay_alu instid0(VALU_DEP_2)
	v_cmp_eq_u32_e64 s1, s1, v45
	s_and_saveexec_b32 s4, s1
	s_cbranch_execz .LBB6_1270
; %bb.1265:
	v_mov_b32_e32 v7, 0
	s_mov_b32 s5, exec_lo
	global_load_b64 v[12:13], v7, s[2:3] offset:24 scope:SCOPE_SYS
	s_wait_loadcnt 0x0
	global_inv scope:SCOPE_SYS
	s_clause 0x1
	global_load_b64 v[2:3], v7, s[2:3] offset:40
	global_load_b64 v[10:11], v7, s[2:3]
	s_wait_loadcnt 0x1
	v_and_b32_e32 v2, v2, v12
	v_and_b32_e32 v3, v3, v13
	s_delay_alu instid0(VALU_DEP_1) | instskip(SKIP_1) | instid1(VALU_DEP_1)
	v_mul_u64_e32 v[2:3], 24, v[2:3]
	s_wait_loadcnt 0x0
	v_add_nc_u64_e32 v[2:3], v[10:11], v[2:3]
	global_load_b64 v[10:11], v[2:3], off scope:SCOPE_SYS
	s_wait_xcnt 0x0
	s_wait_loadcnt 0x0
	global_atomic_cmpswap_b64 v[2:3], v7, v[10:13], s[2:3] offset:24 th:TH_ATOMIC_RETURN scope:SCOPE_SYS
	s_wait_loadcnt 0x0
	global_inv scope:SCOPE_SYS
	s_wait_xcnt 0x0
	v_cmpx_ne_u64_e64 v[2:3], v[12:13]
	s_cbranch_execz .LBB6_1269
; %bb.1266:
	s_mov_b32 s6, 0
.LBB6_1267:                             ; =>This Inner Loop Header: Depth=1
	s_sleep 1
	s_clause 0x1
	global_load_b64 v[10:11], v7, s[2:3] offset:40
	global_load_b64 v[14:15], v7, s[2:3]
	v_mov_b64_e32 v[12:13], v[2:3]
	s_wait_loadcnt 0x1
	s_delay_alu instid0(VALU_DEP_1) | instskip(NEXT) | instid1(VALU_DEP_2)
	v_and_b32_e32 v2, v10, v12
	v_and_b32_e32 v10, v11, v13
	s_wait_loadcnt 0x0
	s_delay_alu instid0(VALU_DEP_2) | instskip(NEXT) | instid1(VALU_DEP_1)
	v_mad_nc_u64_u32 v[2:3], v2, 24, v[14:15]
	v_mad_u32 v3, v10, 24, v3
	global_load_b64 v[10:11], v[2:3], off scope:SCOPE_SYS
	s_wait_xcnt 0x0
	s_wait_loadcnt 0x0
	global_atomic_cmpswap_b64 v[2:3], v7, v[10:13], s[2:3] offset:24 th:TH_ATOMIC_RETURN scope:SCOPE_SYS
	s_wait_loadcnt 0x0
	global_inv scope:SCOPE_SYS
	v_cmp_eq_u64_e32 vcc_lo, v[2:3], v[12:13]
	s_or_b32 s6, vcc_lo, s6
	s_wait_xcnt 0x0
	s_and_not1_b32 exec_lo, exec_lo, s6
	s_cbranch_execnz .LBB6_1267
; %bb.1268:
	s_or_b32 exec_lo, exec_lo, s6
.LBB6_1269:
	s_delay_alu instid0(SALU_CYCLE_1)
	s_or_b32 exec_lo, exec_lo, s5
.LBB6_1270:
	s_delay_alu instid0(SALU_CYCLE_1)
	s_or_b32 exec_lo, exec_lo, s4
	v_readfirstlane_b32 s4, v2
	v_mov_b32_e32 v7, 0
	v_readfirstlane_b32 s5, v3
	s_mov_b32 s6, exec_lo
	s_wait_loadcnt 0x0
	s_clause 0x1
	global_load_b64 v[10:11], v7, s[2:3] offset:40
	global_load_b128 v[12:15], v7, s[2:3]
	s_wait_loadcnt 0x1
	v_and_b32_e32 v10, s4, v10
	v_and_b32_e32 v11, s5, v11
	s_delay_alu instid0(VALU_DEP_1) | instskip(SKIP_1) | instid1(VALU_DEP_1)
	v_mul_u64_e32 v[2:3], 24, v[10:11]
	s_wait_loadcnt 0x0
	v_add_nc_u64_e32 v[2:3], v[12:13], v[2:3]
	s_wait_xcnt 0x0
	s_and_saveexec_b32 s7, s1
	s_cbranch_execz .LBB6_1272
; %bb.1271:
	v_mov_b64_e32 v[18:19], 0x100000002
	v_dual_mov_b32 v16, s6 :: v_dual_mov_b32 v17, v7
	global_store_b128 v[2:3], v[16:19], off offset:8
.LBB6_1272:
	s_wait_xcnt 0x0
	s_or_b32 exec_lo, exec_lo, s7
	v_lshlrev_b64_e32 v[10:11], 12, v[10:11]
	s_mov_b32 s8, 0
	v_and_or_b32 v8, 0xffffff1f, v8, 32
	s_mov_b32 s10, s8
	s_mov_b32 s11, s8
	;; [unrolled: 1-line block ×3, first 2 shown]
	v_mov_b64_e32 v[18:19], s[10:11]
	v_add_nc_u64_e32 v[14:15], v[14:15], v[10:11]
	v_mov_b64_e32 v[16:17], s[8:9]
	v_dual_mov_b32 v10, v7 :: v_dual_mov_b32 v11, v7
	s_delay_alu instid0(VALU_DEP_3) | instskip(NEXT) | instid1(VALU_DEP_4)
	v_readfirstlane_b32 s6, v14
	v_readfirstlane_b32 s7, v15
	s_clause 0x3
	global_store_b128 v6, v[8:11], s[6:7]
	global_store_b128 v6, v[16:19], s[6:7] offset:16
	global_store_b128 v6, v[16:19], s[6:7] offset:32
	;; [unrolled: 1-line block ×3, first 2 shown]
	s_wait_xcnt 0x0
	s_and_saveexec_b32 s6, s1
	s_cbranch_execz .LBB6_1279
; %bb.1273:
	v_dual_mov_b32 v16, 0 :: v_dual_mov_b32 v19, s5
	s_mov_b32 s7, exec_lo
	s_clause 0x1
	global_load_b64 v[20:21], v16, s[2:3] offset:32 scope:SCOPE_SYS
	global_load_b64 v[8:9], v16, s[2:3] offset:40
	s_wait_loadcnt 0x0
	v_dual_mov_b32 v18, s4 :: v_dual_bitop2_b32 v9, s5, v9 bitop3:0x40
	v_and_b32_e32 v8, s4, v8
	s_delay_alu instid0(VALU_DEP_1) | instskip(NEXT) | instid1(VALU_DEP_1)
	v_mul_u64_e32 v[8:9], 24, v[8:9]
	v_add_nc_u64_e32 v[12:13], v[12:13], v[8:9]
	global_store_b64 v[12:13], v[20:21], off
	global_wb scope:SCOPE_SYS
	s_wait_storecnt 0x0
	s_wait_xcnt 0x0
	global_atomic_cmpswap_b64 v[10:11], v16, v[18:21], s[2:3] offset:32 th:TH_ATOMIC_RETURN scope:SCOPE_SYS
	s_wait_loadcnt 0x0
	v_cmpx_ne_u64_e64 v[10:11], v[20:21]
	s_cbranch_execz .LBB6_1275
.LBB6_1274:                             ; =>This Inner Loop Header: Depth=1
	v_dual_mov_b32 v8, s4 :: v_dual_mov_b32 v9, s5
	s_sleep 1
	global_store_b64 v[12:13], v[10:11], off
	global_wb scope:SCOPE_SYS
	s_wait_storecnt 0x0
	s_wait_xcnt 0x0
	global_atomic_cmpswap_b64 v[8:9], v16, v[8:11], s[2:3] offset:32 th:TH_ATOMIC_RETURN scope:SCOPE_SYS
	s_wait_loadcnt 0x0
	v_cmp_eq_u64_e32 vcc_lo, v[8:9], v[10:11]
	v_mov_b64_e32 v[10:11], v[8:9]
	s_or_b32 s8, vcc_lo, s8
	s_delay_alu instid0(SALU_CYCLE_1)
	s_and_not1_b32 exec_lo, exec_lo, s8
	s_cbranch_execnz .LBB6_1274
.LBB6_1275:
	s_or_b32 exec_lo, exec_lo, s7
	v_mov_b32_e32 v11, 0
	s_mov_b32 s8, exec_lo
	s_mov_b32 s7, exec_lo
	v_mbcnt_lo_u32_b32 v10, s8, 0
	global_load_b64 v[8:9], v11, s[2:3] offset:16
	s_wait_xcnt 0x0
	v_cmpx_eq_u32_e32 0, v10
	s_cbranch_execz .LBB6_1277
; %bb.1276:
	s_bcnt1_i32_b32 s8, s8
	s_delay_alu instid0(SALU_CYCLE_1)
	v_mov_b32_e32 v10, s8
	global_wb scope:SCOPE_SYS
	s_wait_loadcnt 0x0
	s_wait_storecnt 0x0
	global_atomic_add_u64 v[8:9], v[10:11], off offset:8 scope:SCOPE_SYS
.LBB6_1277:
	s_wait_xcnt 0x0
	s_or_b32 exec_lo, exec_lo, s7
	s_wait_loadcnt 0x0
	global_load_b64 v[10:11], v[8:9], off offset:16
	s_wait_loadcnt 0x0
	v_cmp_eq_u64_e32 vcc_lo, 0, v[10:11]
	s_cbranch_vccnz .LBB6_1279
; %bb.1278:
	global_load_b32 v8, v[8:9], off offset:24
	s_wait_xcnt 0x0
	v_mov_b32_e32 v9, 0
	s_wait_loadcnt 0x0
	v_readfirstlane_b32 s7, v8
	global_wb scope:SCOPE_SYS
	s_wait_storecnt 0x0
	global_store_b64 v[10:11], v[8:9], off scope:SCOPE_SYS
	s_and_b32 m0, s7, 0xffffff
	s_sendmsg sendmsg(MSG_INTERRUPT)
.LBB6_1279:
	s_wait_xcnt 0x0
	s_or_b32 exec_lo, exec_lo, s6
	v_add_nc_u64_e32 v[8:9], v[14:15], v[6:7]
	s_branch .LBB6_1283
.LBB6_1280:                             ;   in Loop: Header=BB6_1283 Depth=1
	s_wait_xcnt 0x0
	s_or_b32 exec_lo, exec_lo, s6
	s_delay_alu instid0(VALU_DEP_1)
	v_readfirstlane_b32 s6, v7
	s_cmp_eq_u32 s6, 0
	s_cbranch_scc1 .LBB6_1282
; %bb.1281:                             ;   in Loop: Header=BB6_1283 Depth=1
	s_sleep 1
	s_cbranch_execnz .LBB6_1283
	s_branch .LBB6_1285
.LBB6_1282:
	s_branch .LBB6_1285
.LBB6_1283:                             ; =>This Inner Loop Header: Depth=1
	v_mov_b32_e32 v7, 1
	s_and_saveexec_b32 s6, s1
	s_cbranch_execz .LBB6_1280
; %bb.1284:                             ;   in Loop: Header=BB6_1283 Depth=1
	global_load_b32 v7, v[2:3], off offset:20 scope:SCOPE_SYS
	s_wait_loadcnt 0x0
	global_inv scope:SCOPE_SYS
	v_and_b32_e32 v7, 1, v7
	s_branch .LBB6_1280
.LBB6_1285:
	global_load_b64 v[10:11], v[8:9], off
	s_wait_xcnt 0x0
	s_and_saveexec_b32 s6, s1
	s_cbranch_execz .LBB6_1289
; %bb.1286:
	v_mov_b32_e32 v7, 0
	s_clause 0x2
	global_load_b64 v[2:3], v7, s[2:3] offset:40
	global_load_b64 v[16:17], v7, s[2:3] offset:24 scope:SCOPE_SYS
	global_load_b64 v[8:9], v7, s[2:3]
	s_wait_loadcnt 0x2
	v_readfirstlane_b32 s8, v2
	v_readfirstlane_b32 s9, v3
	s_add_nc_u64 s[10:11], s[8:9], 1
	s_delay_alu instid0(SALU_CYCLE_1) | instskip(NEXT) | instid1(SALU_CYCLE_1)
	s_add_nc_u64 s[4:5], s[10:11], s[4:5]
	s_cmp_eq_u64 s[4:5], 0
	s_cselect_b32 s5, s11, s5
	s_cselect_b32 s4, s10, s4
	v_mov_b32_e32 v15, s5
	s_and_b64 s[8:9], s[4:5], s[8:9]
	v_mov_b32_e32 v14, s4
	s_mul_u64 s[8:9], s[8:9], 24
	s_wait_loadcnt 0x0
	v_add_nc_u64_e32 v[2:3], s[8:9], v[8:9]
	global_store_b64 v[2:3], v[16:17], off
	global_wb scope:SCOPE_SYS
	s_wait_storecnt 0x0
	s_wait_xcnt 0x0
	global_atomic_cmpswap_b64 v[14:15], v7, v[14:17], s[2:3] offset:24 th:TH_ATOMIC_RETURN scope:SCOPE_SYS
	s_wait_loadcnt 0x0
	v_cmp_ne_u64_e32 vcc_lo, v[14:15], v[16:17]
	s_and_b32 exec_lo, exec_lo, vcc_lo
	s_cbranch_execz .LBB6_1289
; %bb.1287:
	s_mov_b32 s1, 0
.LBB6_1288:                             ; =>This Inner Loop Header: Depth=1
	v_dual_mov_b32 v12, s4 :: v_dual_mov_b32 v13, s5
	s_sleep 1
	global_store_b64 v[2:3], v[14:15], off
	global_wb scope:SCOPE_SYS
	s_wait_storecnt 0x0
	s_wait_xcnt 0x0
	global_atomic_cmpswap_b64 v[8:9], v7, v[12:15], s[2:3] offset:24 th:TH_ATOMIC_RETURN scope:SCOPE_SYS
	s_wait_loadcnt 0x0
	v_cmp_eq_u64_e32 vcc_lo, v[8:9], v[14:15]
	v_mov_b64_e32 v[14:15], v[8:9]
	s_or_b32 s1, vcc_lo, s1
	s_delay_alu instid0(SALU_CYCLE_1)
	s_and_not1_b32 exec_lo, exec_lo, s1
	s_cbranch_execnz .LBB6_1288
.LBB6_1289:
	s_or_b32 exec_lo, exec_lo, s6
.LBB6_1290:
	v_readfirstlane_b32 s1, v45
	v_mov_b64_e32 v[2:3], 0
	s_delay_alu instid0(VALU_DEP_2)
	v_cmp_eq_u32_e64 s1, s1, v45
	s_and_saveexec_b32 s4, s1
	s_cbranch_execz .LBB6_1296
; %bb.1291:
	v_mov_b32_e32 v7, 0
	s_mov_b32 s5, exec_lo
	global_load_b64 v[14:15], v7, s[2:3] offset:24 scope:SCOPE_SYS
	s_wait_loadcnt 0x0
	global_inv scope:SCOPE_SYS
	s_clause 0x1
	global_load_b64 v[2:3], v7, s[2:3] offset:40
	global_load_b64 v[8:9], v7, s[2:3]
	s_wait_loadcnt 0x1
	v_and_b32_e32 v2, v2, v14
	v_and_b32_e32 v3, v3, v15
	s_delay_alu instid0(VALU_DEP_1) | instskip(SKIP_1) | instid1(VALU_DEP_1)
	v_mul_u64_e32 v[2:3], 24, v[2:3]
	s_wait_loadcnt 0x0
	v_add_nc_u64_e32 v[2:3], v[8:9], v[2:3]
	global_load_b64 v[12:13], v[2:3], off scope:SCOPE_SYS
	s_wait_xcnt 0x0
	s_wait_loadcnt 0x0
	global_atomic_cmpswap_b64 v[2:3], v7, v[12:15], s[2:3] offset:24 th:TH_ATOMIC_RETURN scope:SCOPE_SYS
	s_wait_loadcnt 0x0
	global_inv scope:SCOPE_SYS
	s_wait_xcnt 0x0
	v_cmpx_ne_u64_e64 v[2:3], v[14:15]
	s_cbranch_execz .LBB6_1295
; %bb.1292:
	s_mov_b32 s6, 0
.LBB6_1293:                             ; =>This Inner Loop Header: Depth=1
	s_sleep 1
	s_clause 0x1
	global_load_b64 v[8:9], v7, s[2:3] offset:40
	global_load_b64 v[12:13], v7, s[2:3]
	v_mov_b64_e32 v[14:15], v[2:3]
	s_wait_loadcnt 0x1
	s_delay_alu instid0(VALU_DEP_1) | instskip(NEXT) | instid1(VALU_DEP_2)
	v_and_b32_e32 v2, v8, v14
	v_and_b32_e32 v8, v9, v15
	s_wait_loadcnt 0x0
	s_delay_alu instid0(VALU_DEP_2) | instskip(NEXT) | instid1(VALU_DEP_1)
	v_mad_nc_u64_u32 v[2:3], v2, 24, v[12:13]
	v_mad_u32 v3, v8, 24, v3
	global_load_b64 v[12:13], v[2:3], off scope:SCOPE_SYS
	s_wait_xcnt 0x0
	s_wait_loadcnt 0x0
	global_atomic_cmpswap_b64 v[2:3], v7, v[12:15], s[2:3] offset:24 th:TH_ATOMIC_RETURN scope:SCOPE_SYS
	s_wait_loadcnt 0x0
	global_inv scope:SCOPE_SYS
	v_cmp_eq_u64_e32 vcc_lo, v[2:3], v[14:15]
	s_or_b32 s6, vcc_lo, s6
	s_wait_xcnt 0x0
	s_and_not1_b32 exec_lo, exec_lo, s6
	s_cbranch_execnz .LBB6_1293
; %bb.1294:
	s_or_b32 exec_lo, exec_lo, s6
.LBB6_1295:
	s_delay_alu instid0(SALU_CYCLE_1)
	s_or_b32 exec_lo, exec_lo, s5
.LBB6_1296:
	s_delay_alu instid0(SALU_CYCLE_1)
	s_or_b32 exec_lo, exec_lo, s4
	v_readfirstlane_b32 s4, v2
	v_mov_b32_e32 v7, 0
	v_readfirstlane_b32 s5, v3
	s_mov_b32 s6, exec_lo
	s_wait_loadcnt 0x0
	s_clause 0x1
	global_load_b64 v[8:9], v7, s[2:3] offset:40
	global_load_b128 v[14:17], v7, s[2:3]
	s_wait_loadcnt 0x1
	v_and_b32_e32 v8, s4, v8
	v_and_b32_e32 v9, s5, v9
	s_delay_alu instid0(VALU_DEP_1) | instskip(SKIP_1) | instid1(VALU_DEP_1)
	v_mul_u64_e32 v[2:3], 24, v[8:9]
	s_wait_loadcnt 0x0
	v_add_nc_u64_e32 v[2:3], v[14:15], v[2:3]
	s_wait_xcnt 0x0
	s_and_saveexec_b32 s7, s1
	s_cbranch_execz .LBB6_1298
; %bb.1297:
	v_mov_b64_e32 v[20:21], 0x100000002
	v_dual_mov_b32 v18, s6 :: v_dual_mov_b32 v19, v7
	global_store_b128 v[2:3], v[18:21], off offset:8
.LBB6_1298:
	s_wait_xcnt 0x0
	s_or_b32 exec_lo, exec_lo, s7
	v_lshlrev_b64_e32 v[8:9], 12, v[8:9]
	s_mov_b32 s8, 0
	v_and_or_b32 v10, 0xffffff1f, v10, 32
	s_mov_b32 s10, s8
	s_mov_b32 s11, s8
	s_mov_b32 s9, s8
	v_mov_b64_e32 v[20:21], s[10:11]
	v_add_nc_u64_e32 v[16:17], v[16:17], v[8:9]
	v_mov_b64_e32 v[18:19], s[8:9]
	v_dual_mov_b32 v12, v5 :: v_dual_mov_b32 v13, v7
	s_delay_alu instid0(VALU_DEP_3) | instskip(NEXT) | instid1(VALU_DEP_4)
	v_readfirstlane_b32 s6, v16
	v_readfirstlane_b32 s7, v17
	s_clause 0x3
	global_store_b128 v6, v[10:13], s[6:7]
	global_store_b128 v6, v[18:21], s[6:7] offset:16
	global_store_b128 v6, v[18:21], s[6:7] offset:32
	;; [unrolled: 1-line block ×3, first 2 shown]
	s_wait_xcnt 0x0
	s_and_saveexec_b32 s6, s1
	s_cbranch_execz .LBB6_1305
; %bb.1299:
	v_dual_mov_b32 v5, 0 :: v_dual_mov_b32 v19, s5
	s_mov_b32 s7, exec_lo
	s_clause 0x1
	global_load_b64 v[20:21], v5, s[2:3] offset:32 scope:SCOPE_SYS
	global_load_b64 v[8:9], v5, s[2:3] offset:40
	s_wait_loadcnt 0x0
	v_dual_mov_b32 v18, s4 :: v_dual_bitop2_b32 v9, s5, v9 bitop3:0x40
	v_and_b32_e32 v8, s4, v8
	s_delay_alu instid0(VALU_DEP_1) | instskip(NEXT) | instid1(VALU_DEP_1)
	v_mul_u64_e32 v[8:9], 24, v[8:9]
	v_add_nc_u64_e32 v[12:13], v[14:15], v[8:9]
	global_store_b64 v[12:13], v[20:21], off
	global_wb scope:SCOPE_SYS
	s_wait_storecnt 0x0
	s_wait_xcnt 0x0
	global_atomic_cmpswap_b64 v[10:11], v5, v[18:21], s[2:3] offset:32 th:TH_ATOMIC_RETURN scope:SCOPE_SYS
	s_wait_loadcnt 0x0
	v_cmpx_ne_u64_e64 v[10:11], v[20:21]
	s_cbranch_execz .LBB6_1301
.LBB6_1300:                             ; =>This Inner Loop Header: Depth=1
	v_dual_mov_b32 v8, s4 :: v_dual_mov_b32 v9, s5
	s_sleep 1
	global_store_b64 v[12:13], v[10:11], off
	global_wb scope:SCOPE_SYS
	s_wait_storecnt 0x0
	s_wait_xcnt 0x0
	global_atomic_cmpswap_b64 v[8:9], v5, v[8:11], s[2:3] offset:32 th:TH_ATOMIC_RETURN scope:SCOPE_SYS
	s_wait_loadcnt 0x0
	v_cmp_eq_u64_e32 vcc_lo, v[8:9], v[10:11]
	v_mov_b64_e32 v[10:11], v[8:9]
	s_or_b32 s8, vcc_lo, s8
	s_delay_alu instid0(SALU_CYCLE_1)
	s_and_not1_b32 exec_lo, exec_lo, s8
	s_cbranch_execnz .LBB6_1300
.LBB6_1301:
	s_or_b32 exec_lo, exec_lo, s7
	v_mov_b32_e32 v11, 0
	s_mov_b32 s8, exec_lo
	s_mov_b32 s7, exec_lo
	v_mbcnt_lo_u32_b32 v5, s8, 0
	global_load_b64 v[8:9], v11, s[2:3] offset:16
	s_wait_xcnt 0x0
	v_cmpx_eq_u32_e32 0, v5
	s_cbranch_execz .LBB6_1303
; %bb.1302:
	s_bcnt1_i32_b32 s8, s8
	s_delay_alu instid0(SALU_CYCLE_1)
	v_mov_b32_e32 v10, s8
	global_wb scope:SCOPE_SYS
	s_wait_loadcnt 0x0
	s_wait_storecnt 0x0
	global_atomic_add_u64 v[8:9], v[10:11], off offset:8 scope:SCOPE_SYS
.LBB6_1303:
	s_wait_xcnt 0x0
	s_or_b32 exec_lo, exec_lo, s7
	s_wait_loadcnt 0x0
	global_load_b64 v[10:11], v[8:9], off offset:16
	s_wait_loadcnt 0x0
	v_cmp_eq_u64_e32 vcc_lo, 0, v[10:11]
	s_cbranch_vccnz .LBB6_1305
; %bb.1304:
	global_load_b32 v8, v[8:9], off offset:24
	s_wait_xcnt 0x0
	v_mov_b32_e32 v9, 0
	s_wait_loadcnt 0x0
	v_readfirstlane_b32 s7, v8
	global_wb scope:SCOPE_SYS
	s_wait_storecnt 0x0
	global_store_b64 v[10:11], v[8:9], off scope:SCOPE_SYS
	s_and_b32 m0, s7, 0xffffff
	s_sendmsg sendmsg(MSG_INTERRUPT)
.LBB6_1305:
	s_wait_xcnt 0x0
	s_or_b32 exec_lo, exec_lo, s6
	v_add_nc_u64_e32 v[8:9], v[16:17], v[6:7]
	s_branch .LBB6_1309
.LBB6_1306:                             ;   in Loop: Header=BB6_1309 Depth=1
	s_wait_xcnt 0x0
	s_or_b32 exec_lo, exec_lo, s6
	s_delay_alu instid0(VALU_DEP_1)
	v_readfirstlane_b32 s6, v5
	s_cmp_eq_u32 s6, 0
	s_cbranch_scc1 .LBB6_1308
; %bb.1307:                             ;   in Loop: Header=BB6_1309 Depth=1
	s_sleep 1
	s_cbranch_execnz .LBB6_1309
	s_branch .LBB6_1311
.LBB6_1308:
	s_branch .LBB6_1311
.LBB6_1309:                             ; =>This Inner Loop Header: Depth=1
	v_mov_b32_e32 v5, 1
	s_and_saveexec_b32 s6, s1
	s_cbranch_execz .LBB6_1306
; %bb.1310:                             ;   in Loop: Header=BB6_1309 Depth=1
	global_load_b32 v5, v[2:3], off offset:20 scope:SCOPE_SYS
	s_wait_loadcnt 0x0
	global_inv scope:SCOPE_SYS
	v_and_b32_e32 v5, 1, v5
	s_branch .LBB6_1306
.LBB6_1311:
	global_load_b64 v[2:3], v[8:9], off
	s_wait_xcnt 0x0
	s_and_saveexec_b32 s6, s1
	s_cbranch_execz .LBB6_1315
; %bb.1312:
	v_mov_b32_e32 v5, 0
	s_clause 0x2
	global_load_b64 v[8:9], v5, s[2:3] offset:40
	global_load_b64 v[16:17], v5, s[2:3] offset:24 scope:SCOPE_SYS
	global_load_b64 v[10:11], v5, s[2:3]
	s_wait_loadcnt 0x2
	v_readfirstlane_b32 s8, v8
	v_readfirstlane_b32 s9, v9
	s_add_nc_u64 s[10:11], s[8:9], 1
	s_delay_alu instid0(SALU_CYCLE_1) | instskip(NEXT) | instid1(SALU_CYCLE_1)
	s_add_nc_u64 s[4:5], s[10:11], s[4:5]
	s_cmp_eq_u64 s[4:5], 0
	s_cselect_b32 s5, s11, s5
	s_cselect_b32 s4, s10, s4
	v_mov_b32_e32 v15, s5
	s_and_b64 s[8:9], s[4:5], s[8:9]
	v_mov_b32_e32 v14, s4
	s_mul_u64 s[8:9], s[8:9], 24
	s_wait_loadcnt 0x0
	v_add_nc_u64_e32 v[12:13], s[8:9], v[10:11]
	global_store_b64 v[12:13], v[16:17], off
	global_wb scope:SCOPE_SYS
	s_wait_storecnt 0x0
	s_wait_xcnt 0x0
	global_atomic_cmpswap_b64 v[10:11], v5, v[14:17], s[2:3] offset:24 th:TH_ATOMIC_RETURN scope:SCOPE_SYS
	s_wait_loadcnt 0x0
	v_cmp_ne_u64_e32 vcc_lo, v[10:11], v[16:17]
	s_and_b32 exec_lo, exec_lo, vcc_lo
	s_cbranch_execz .LBB6_1315
; %bb.1313:
	s_mov_b32 s1, 0
.LBB6_1314:                             ; =>This Inner Loop Header: Depth=1
	v_dual_mov_b32 v8, s4 :: v_dual_mov_b32 v9, s5
	s_sleep 1
	global_store_b64 v[12:13], v[10:11], off
	global_wb scope:SCOPE_SYS
	s_wait_storecnt 0x0
	s_wait_xcnt 0x0
	global_atomic_cmpswap_b64 v[8:9], v5, v[8:11], s[2:3] offset:24 th:TH_ATOMIC_RETURN scope:SCOPE_SYS
	s_wait_loadcnt 0x0
	v_cmp_eq_u64_e32 vcc_lo, v[8:9], v[10:11]
	v_mov_b64_e32 v[10:11], v[8:9]
	s_or_b32 s1, vcc_lo, s1
	s_delay_alu instid0(SALU_CYCLE_1)
	s_and_not1_b32 exec_lo, exec_lo, s1
	s_cbranch_execnz .LBB6_1314
.LBB6_1315:
	s_or_b32 exec_lo, exec_lo, s6
	v_readfirstlane_b32 s1, v45
	v_mov_b64_e32 v[12:13], 0
	s_delay_alu instid0(VALU_DEP_2)
	v_cmp_eq_u32_e64 s1, s1, v45
	s_and_saveexec_b32 s4, s1
	s_cbranch_execz .LBB6_1321
; %bb.1316:
	v_mov_b32_e32 v5, 0
	s_mov_b32 s5, exec_lo
	global_load_b64 v[10:11], v5, s[2:3] offset:24 scope:SCOPE_SYS
	s_wait_loadcnt 0x0
	global_inv scope:SCOPE_SYS
	s_clause 0x1
	global_load_b64 v[8:9], v5, s[2:3] offset:40
	global_load_b64 v[12:13], v5, s[2:3]
	s_wait_loadcnt 0x1
	v_and_b32_e32 v8, v8, v10
	v_and_b32_e32 v9, v9, v11
	s_delay_alu instid0(VALU_DEP_1) | instskip(SKIP_1) | instid1(VALU_DEP_1)
	v_mul_u64_e32 v[8:9], 24, v[8:9]
	s_wait_loadcnt 0x0
	v_add_nc_u64_e32 v[8:9], v[12:13], v[8:9]
	global_load_b64 v[8:9], v[8:9], off scope:SCOPE_SYS
	s_wait_xcnt 0x0
	s_wait_loadcnt 0x0
	global_atomic_cmpswap_b64 v[12:13], v5, v[8:11], s[2:3] offset:24 th:TH_ATOMIC_RETURN scope:SCOPE_SYS
	s_wait_loadcnt 0x0
	global_inv scope:SCOPE_SYS
	s_wait_xcnt 0x0
	v_cmpx_ne_u64_e64 v[12:13], v[10:11]
	s_cbranch_execz .LBB6_1320
; %bb.1317:
	s_mov_b32 s6, 0
.LBB6_1318:                             ; =>This Inner Loop Header: Depth=1
	s_sleep 1
	s_clause 0x1
	global_load_b64 v[8:9], v5, s[2:3] offset:40
	global_load_b64 v[14:15], v5, s[2:3]
	v_mov_b64_e32 v[10:11], v[12:13]
	s_wait_loadcnt 0x1
	s_delay_alu instid0(VALU_DEP_1) | instskip(SKIP_1) | instid1(VALU_DEP_1)
	v_and_b32_e32 v7, v8, v10
	s_wait_loadcnt 0x0
	v_mad_nc_u64_u32 v[12:13], v7, 24, v[14:15]
	s_delay_alu instid0(VALU_DEP_3) | instskip(NEXT) | instid1(VALU_DEP_1)
	v_and_b32_e32 v7, v9, v11
	v_mad_u32 v13, v7, 24, v13
	global_load_b64 v[8:9], v[12:13], off scope:SCOPE_SYS
	s_wait_xcnt 0x0
	s_wait_loadcnt 0x0
	global_atomic_cmpswap_b64 v[12:13], v5, v[8:11], s[2:3] offset:24 th:TH_ATOMIC_RETURN scope:SCOPE_SYS
	s_wait_loadcnt 0x0
	global_inv scope:SCOPE_SYS
	v_cmp_eq_u64_e32 vcc_lo, v[12:13], v[10:11]
	s_or_b32 s6, vcc_lo, s6
	s_wait_xcnt 0x0
	s_and_not1_b32 exec_lo, exec_lo, s6
	s_cbranch_execnz .LBB6_1318
; %bb.1319:
	s_or_b32 exec_lo, exec_lo, s6
.LBB6_1320:
	s_delay_alu instid0(SALU_CYCLE_1)
	s_or_b32 exec_lo, exec_lo, s5
.LBB6_1321:
	s_delay_alu instid0(SALU_CYCLE_1)
	s_or_b32 exec_lo, exec_lo, s4
	v_readfirstlane_b32 s4, v12
	v_mov_b32_e32 v5, 0
	v_readfirstlane_b32 s5, v13
	s_mov_b32 s6, exec_lo
	s_clause 0x1
	global_load_b64 v[14:15], v5, s[2:3] offset:40
	global_load_b128 v[8:11], v5, s[2:3]
	s_wait_loadcnt 0x1
	v_and_b32_e32 v14, s4, v14
	v_and_b32_e32 v15, s5, v15
	s_delay_alu instid0(VALU_DEP_1) | instskip(SKIP_1) | instid1(VALU_DEP_1)
	v_mul_u64_e32 v[12:13], 24, v[14:15]
	s_wait_loadcnt 0x0
	v_add_nc_u64_e32 v[12:13], v[8:9], v[12:13]
	s_wait_xcnt 0x0
	s_and_saveexec_b32 s7, s1
	s_cbranch_execz .LBB6_1323
; %bb.1322:
	v_mov_b64_e32 v[18:19], 0x100000002
	v_dual_mov_b32 v16, s6 :: v_dual_mov_b32 v17, v5
	global_store_b128 v[12:13], v[16:19], off offset:8
.LBB6_1323:
	s_wait_xcnt 0x0
	s_or_b32 exec_lo, exec_lo, s7
	v_lshlrev_b64_e32 v[14:15], 12, v[14:15]
	s_mov_b32 s8, 0
	v_and_or_b32 v2, 0xffffff1d, v2, 34
	s_mov_b32 s10, s8
	s_mov_b32 s11, s8
	;; [unrolled: 1-line block ×3, first 2 shown]
	s_delay_alu instid0(VALU_DEP_2) | instskip(SKIP_2) | instid1(VALU_DEP_3)
	v_add_nc_u64_e32 v[10:11], v[10:11], v[14:15]
	v_mov_b64_e32 v[16:17], s[10:11]
	v_mov_b64_e32 v[14:15], s[8:9]
	v_readfirstlane_b32 s6, v10
	s_delay_alu instid0(VALU_DEP_4)
	v_readfirstlane_b32 s7, v11
	s_clause 0x3
	global_store_b128 v6, v[2:5], s[6:7]
	global_store_b128 v6, v[14:17], s[6:7] offset:16
	global_store_b128 v6, v[14:17], s[6:7] offset:32
	;; [unrolled: 1-line block ×3, first 2 shown]
	s_wait_xcnt 0x0
	s_and_saveexec_b32 s6, s1
	s_cbranch_execz .LBB6_1330
; %bb.1324:
	v_dual_mov_b32 v10, 0 :: v_dual_mov_b32 v15, s5
	s_mov_b32 s7, exec_lo
	s_clause 0x1
	global_load_b64 v[16:17], v10, s[2:3] offset:32 scope:SCOPE_SYS
	global_load_b64 v[2:3], v10, s[2:3] offset:40
	s_wait_loadcnt 0x0
	v_dual_mov_b32 v14, s4 :: v_dual_bitop2_b32 v3, s5, v3 bitop3:0x40
	v_and_b32_e32 v2, s4, v2
	s_delay_alu instid0(VALU_DEP_1) | instskip(NEXT) | instid1(VALU_DEP_1)
	v_mul_u64_e32 v[2:3], 24, v[2:3]
	v_add_nc_u64_e32 v[6:7], v[8:9], v[2:3]
	global_store_b64 v[6:7], v[16:17], off
	global_wb scope:SCOPE_SYS
	s_wait_storecnt 0x0
	s_wait_xcnt 0x0
	global_atomic_cmpswap_b64 v[4:5], v10, v[14:17], s[2:3] offset:32 th:TH_ATOMIC_RETURN scope:SCOPE_SYS
	s_wait_loadcnt 0x0
	v_cmpx_ne_u64_e64 v[4:5], v[16:17]
	s_cbranch_execz .LBB6_1326
.LBB6_1325:                             ; =>This Inner Loop Header: Depth=1
	v_dual_mov_b32 v2, s4 :: v_dual_mov_b32 v3, s5
	s_sleep 1
	global_store_b64 v[6:7], v[4:5], off
	global_wb scope:SCOPE_SYS
	s_wait_storecnt 0x0
	s_wait_xcnt 0x0
	global_atomic_cmpswap_b64 v[2:3], v10, v[2:5], s[2:3] offset:32 th:TH_ATOMIC_RETURN scope:SCOPE_SYS
	s_wait_loadcnt 0x0
	v_cmp_eq_u64_e32 vcc_lo, v[2:3], v[4:5]
	v_mov_b64_e32 v[4:5], v[2:3]
	s_or_b32 s8, vcc_lo, s8
	s_delay_alu instid0(SALU_CYCLE_1)
	s_and_not1_b32 exec_lo, exec_lo, s8
	s_cbranch_execnz .LBB6_1325
.LBB6_1326:
	s_or_b32 exec_lo, exec_lo, s7
	v_mov_b32_e32 v5, 0
	s_mov_b32 s8, exec_lo
	s_mov_b32 s7, exec_lo
	v_mbcnt_lo_u32_b32 v4, s8, 0
	global_load_b64 v[2:3], v5, s[2:3] offset:16
	s_wait_xcnt 0x0
	v_cmpx_eq_u32_e32 0, v4
	s_cbranch_execz .LBB6_1328
; %bb.1327:
	s_bcnt1_i32_b32 s8, s8
	s_delay_alu instid0(SALU_CYCLE_1)
	v_mov_b32_e32 v4, s8
	global_wb scope:SCOPE_SYS
	s_wait_loadcnt 0x0
	s_wait_storecnt 0x0
	global_atomic_add_u64 v[2:3], v[4:5], off offset:8 scope:SCOPE_SYS
.LBB6_1328:
	s_wait_xcnt 0x0
	s_or_b32 exec_lo, exec_lo, s7
	s_wait_loadcnt 0x0
	global_load_b64 v[4:5], v[2:3], off offset:16
	s_wait_loadcnt 0x0
	v_cmp_eq_u64_e32 vcc_lo, 0, v[4:5]
	s_cbranch_vccnz .LBB6_1330
; %bb.1329:
	global_load_b32 v2, v[2:3], off offset:24
	s_wait_xcnt 0x0
	v_mov_b32_e32 v3, 0
	s_wait_loadcnt 0x0
	v_readfirstlane_b32 s7, v2
	global_wb scope:SCOPE_SYS
	s_wait_storecnt 0x0
	global_store_b64 v[4:5], v[2:3], off scope:SCOPE_SYS
	s_and_b32 m0, s7, 0xffffff
	s_sendmsg sendmsg(MSG_INTERRUPT)
.LBB6_1330:
	s_wait_xcnt 0x0
	s_or_b32 exec_lo, exec_lo, s6
	s_branch .LBB6_1334
.LBB6_1331:                             ;   in Loop: Header=BB6_1334 Depth=1
	s_wait_xcnt 0x0
	s_or_b32 exec_lo, exec_lo, s6
	s_delay_alu instid0(VALU_DEP_1)
	v_readfirstlane_b32 s6, v2
	s_cmp_eq_u32 s6, 0
	s_cbranch_scc1 .LBB6_1333
; %bb.1332:                             ;   in Loop: Header=BB6_1334 Depth=1
	s_sleep 1
	s_cbranch_execnz .LBB6_1334
	s_branch .LBB6_1336
.LBB6_1333:
	s_branch .LBB6_1336
.LBB6_1334:                             ; =>This Inner Loop Header: Depth=1
	v_mov_b32_e32 v2, 1
	s_and_saveexec_b32 s6, s1
	s_cbranch_execz .LBB6_1331
; %bb.1335:                             ;   in Loop: Header=BB6_1334 Depth=1
	global_load_b32 v2, v[12:13], off offset:20 scope:SCOPE_SYS
	s_wait_loadcnt 0x0
	global_inv scope:SCOPE_SYS
	v_and_b32_e32 v2, 1, v2
	s_branch .LBB6_1331
.LBB6_1336:
	s_and_b32 exec_lo, exec_lo, s1
	s_cbranch_execz .LBB6_1340
; %bb.1337:
	v_mov_b32_e32 v8, 0
	s_clause 0x2
	global_load_b64 v[2:3], v8, s[2:3] offset:40
	global_load_b64 v[12:13], v8, s[2:3] offset:24 scope:SCOPE_SYS
	global_load_b64 v[4:5], v8, s[2:3]
	s_wait_loadcnt 0x2
	v_readfirstlane_b32 s6, v2
	v_readfirstlane_b32 s7, v3
	s_add_nc_u64 s[8:9], s[6:7], 1
	s_delay_alu instid0(SALU_CYCLE_1) | instskip(NEXT) | instid1(SALU_CYCLE_1)
	s_add_nc_u64 s[4:5], s[8:9], s[4:5]
	s_cmp_eq_u64 s[4:5], 0
	s_cselect_b32 s5, s9, s5
	s_cselect_b32 s4, s8, s4
	v_mov_b32_e32 v11, s5
	s_and_b64 s[6:7], s[4:5], s[6:7]
	v_mov_b32_e32 v10, s4
	s_mul_u64 s[6:7], s[6:7], 24
	s_wait_loadcnt 0x0
	v_add_nc_u64_e32 v[6:7], s[6:7], v[4:5]
	global_store_b64 v[6:7], v[12:13], off
	global_wb scope:SCOPE_SYS
	s_wait_storecnt 0x0
	s_wait_xcnt 0x0
	global_atomic_cmpswap_b64 v[4:5], v8, v[10:13], s[2:3] offset:24 th:TH_ATOMIC_RETURN scope:SCOPE_SYS
	s_wait_loadcnt 0x0
	v_cmp_ne_u64_e32 vcc_lo, v[4:5], v[12:13]
	s_and_b32 exec_lo, exec_lo, vcc_lo
	s_cbranch_execz .LBB6_1340
; %bb.1338:
	s_mov_b32 s1, 0
.LBB6_1339:                             ; =>This Inner Loop Header: Depth=1
	v_dual_mov_b32 v2, s4 :: v_dual_mov_b32 v3, s5
	s_sleep 1
	global_store_b64 v[6:7], v[4:5], off
	global_wb scope:SCOPE_SYS
	s_wait_storecnt 0x0
	s_wait_xcnt 0x0
	global_atomic_cmpswap_b64 v[2:3], v8, v[2:5], s[2:3] offset:24 th:TH_ATOMIC_RETURN scope:SCOPE_SYS
	s_wait_loadcnt 0x0
	v_cmp_eq_u64_e32 vcc_lo, v[2:3], v[4:5]
	v_mov_b64_e32 v[4:5], v[2:3]
	s_or_b32 s1, vcc_lo, s1
	s_delay_alu instid0(SALU_CYCLE_1)
	s_and_not1_b32 exec_lo, exec_lo, s1
	s_cbranch_execnz .LBB6_1339
.LBB6_1340:
	s_or_b32 exec_lo, exec_lo, s16
	v_or_b32_e32 v0, v0, v44
	s_xor_b32 s0, s0, -1
	s_mov_b32 s19, 0
                                        ; implicit-def: $vgpr44
	s_delay_alu instid0(VALU_DEP_1) | instskip(SKIP_1) | instid1(SALU_CYCLE_1)
	v_cmp_lt_i32_e32 vcc_lo, -1, v0
	s_and_b32 s0, vcc_lo, s0
	s_and_saveexec_b32 s1, s0
	s_delay_alu instid0(SALU_CYCLE_1)
	s_xor_b32 s0, exec_lo, s1
	s_cbranch_execz .LBB6_1342
; %bb.1341:
	flat_load_b32 v2, v[42:43]
	v_lshl_or_b32 v0, v38, 1, 1
	s_mov_b32 s19, exec_lo
	s_wait_loadcnt_dscnt 0x0
	v_dual_ashrrev_i32 v3, 31, v2 :: v_dual_add_nc_u32 v6, 1, v2
	v_lshl_or_b32 v44, v2, 1, 1
	s_delay_alu instid0(VALU_DEP_2)
	v_lshl_add_u64 v[4:5], v[2:3], 3, v[42:43]
	s_clause 0x1
	flat_store_b32 v[42:43], v6
	flat_store_b64 v[4:5], v[0:1] offset:8
.LBB6_1342:
	s_wait_xcnt 0x0
	s_or_saveexec_b32 s20, s0
	s_mov_b32 s0, s17
	s_xor_b32 exec_lo, exec_lo, s20
	s_cbranch_execz .LBB6_1344
; %bb.1343:
	s_get_pc_i64 s[0:1]
	s_add_nc_u64 s[0:1], s[0:1], .str.46@rel64+4
	s_get_pc_i64 s[2:3]
	s_add_nc_u64 s[2:3], s[2:3], .str.44@rel64+4
	s_get_pc_i64 s[4:5]
	s_add_nc_u64 s[4:5], s[4:5], __PRETTY_FUNCTION__._ZN8subgUtil18formAndNodeKeyFlagEiii@rel64+4
	v_dual_mov_b32 v0, s0 :: v_dual_mov_b32 v1, s1
	v_dual_mov_b32 v2, s2 :: v_dual_mov_b32 v3, s3
	;; [unrolled: 1-line block ×3, first 2 shown]
	v_mov_b32_e32 v6, s5
	s_get_pc_i64 s[6:7]
	s_add_nc_u64 s[6:7], s[6:7], __assert_fail@rel64+4
	s_mov_b64 s[8:9], s[52:53]
	s_swap_pc_i64 s[30:31], s[6:7]
	s_or_b32 s0, s17, exec_lo
.LBB6_1344:
	s_or_b32 exec_lo, exec_lo, s20
	s_delay_alu instid0(SALU_CYCLE_1)
	s_and_not1_b32 s1, s17, exec_lo
	s_and_b32 s0, s0, exec_lo
	s_and_b32 s48, s19, exec_lo
	s_or_b32 s17, s1, s0
.LBB6_1345:
	s_or_b32 exec_lo, exec_lo, s18
	s_delay_alu instid0(SALU_CYCLE_1) | instskip(SKIP_1) | instid1(SALU_CYCLE_1)
	s_and_not1_b32 s0, s36, exec_lo
	s_and_b32 s1, s17, exec_lo
	s_or_b32 s1, s0, s1
	s_or_not1_b32 s0, s48, exec_lo
.LBB6_1346:
	s_or_b32 exec_lo, exec_lo, s39
	s_mov_b32 s2, 0
	s_and_saveexec_b32 s3, s0
	s_delay_alu instid0(SALU_CYCLE_1)
	s_xor_b32 s0, exec_lo, s3
; %bb.1347:
	s_mov_b32 s2, exec_lo
; %bb.1348:
	s_or_b32 exec_lo, exec_lo, s0
	s_delay_alu instid0(SALU_CYCLE_1)
	s_and_not1_b32 s0, s36, exec_lo
	s_and_b32 s1, s1, exec_lo
	s_and_b32 s17, s2, exec_lo
	s_or_b32 s18, s0, s1
.LBB6_1349:
	s_and_not1_saveexec_b32 s19, s38
	s_cbranch_execz .LBB6_1351
; %bb.1350:
	s_get_pc_i64 s[0:1]
	s_add_nc_u64 s[0:1], s[0:1], .str.46@rel64+4
	s_get_pc_i64 s[2:3]
	s_add_nc_u64 s[2:3], s[2:3], .str.44@rel64+4
	s_get_pc_i64 s[4:5]
	s_add_nc_u64 s[4:5], s[4:5], __PRETTY_FUNCTION__._ZN8subgUtil18formAndNodeKeyFlagEiii@rel64+4
	v_dual_mov_b32 v0, s0 :: v_dual_mov_b32 v1, s1
	v_dual_mov_b32 v2, s2 :: v_dual_mov_b32 v3, s3
	;; [unrolled: 1-line block ×3, first 2 shown]
	v_mov_b32_e32 v6, s5
	s_get_pc_i64 s[6:7]
	s_add_nc_u64 s[6:7], s[6:7], __assert_fail@rel64+4
	s_mov_b64 s[8:9], s[52:53]
	s_swap_pc_i64 s[30:31], s[6:7]
	s_or_b32 s18, s18, exec_lo
.LBB6_1351:
	s_or_b32 exec_lo, exec_lo, s19
	s_delay_alu instid0(SALU_CYCLE_1) | instskip(SKIP_1) | instid1(SALU_CYCLE_1)
	s_and_not1_b32 s0, s36, exec_lo
	s_and_b32 s1, s18, exec_lo
	s_or_b32 s36, s0, s1
	s_and_b32 s0, s17, exec_lo
.LBB6_1352:
	s_or_b32 exec_lo, exec_lo, s37
	s_delay_alu instid0(SALU_CYCLE_1) | instskip(SKIP_1) | instid1(SALU_CYCLE_1)
	s_and_not1_b32 s1, s69, exec_lo
	s_and_b32 s2, s36, exec_lo
	s_or_b32 s69, s1, s2
	s_and_b32 s1, s0, exec_lo
.LBB6_1353:
	s_or_b32 exec_lo, exec_lo, s70
	s_delay_alu instid0(SALU_CYCLE_1)
	s_and_not1_b32 s0, s67, exec_lo
	s_and_b32 s2, s69, exec_lo
	s_and_b32 s1, s1, exec_lo
	s_or_b32 s67, s0, s2
.LBB6_1354:
	s_or_b32 exec_lo, exec_lo, s68
	v_readlane_b32 s0, v73, 0
	s_and_b32 s2, s67, exec_lo
	s_and_b32 s17, s1, exec_lo
	s_and_not1_b32 s0, s0, exec_lo
	s_delay_alu instid0(SALU_CYCLE_1)
	s_or_b32 s18, s0, s2
.LBB6_1355:
	s_and_not1_saveexec_b32 s19, s49
	s_cbranch_execz .LBB6_1498
; %bb.1356:
	s_load_b64 s[2:3], s[52:53], 0x50
	v_mbcnt_lo_u32_b32 v32, -1, 0
	v_mov_b64_e32 v[2:3], 0
	s_delay_alu instid0(VALU_DEP_2) | instskip(NEXT) | instid1(VALU_DEP_1)
	v_readfirstlane_b32 s0, v32
	v_cmp_eq_u32_e64 s0, s0, v32
	s_and_saveexec_b32 s1, s0
	s_cbranch_execz .LBB6_1362
; %bb.1357:
	v_mov_b32_e32 v0, 0
	s_mov_b32 s4, exec_lo
	s_wait_kmcnt 0x0
	global_load_b64 v[4:5], v0, s[2:3] offset:24 scope:SCOPE_SYS
	s_wait_loadcnt 0x0
	global_inv scope:SCOPE_SYS
	s_clause 0x1
	global_load_b64 v[2:3], v0, s[2:3] offset:40
	global_load_b64 v[6:7], v0, s[2:3]
	s_wait_loadcnt 0x1
	v_and_b32_e32 v2, v2, v4
	v_and_b32_e32 v3, v3, v5
	s_delay_alu instid0(VALU_DEP_1) | instskip(SKIP_1) | instid1(VALU_DEP_1)
	v_mul_u64_e32 v[2:3], 24, v[2:3]
	s_wait_loadcnt 0x0
	v_add_nc_u64_e32 v[2:3], v[6:7], v[2:3]
	global_load_b64 v[2:3], v[2:3], off scope:SCOPE_SYS
	s_wait_xcnt 0x0
	s_wait_loadcnt 0x0
	global_atomic_cmpswap_b64 v[2:3], v0, v[2:5], s[2:3] offset:24 th:TH_ATOMIC_RETURN scope:SCOPE_SYS
	s_wait_loadcnt 0x0
	global_inv scope:SCOPE_SYS
	s_wait_xcnt 0x0
	v_cmpx_ne_u64_e64 v[2:3], v[4:5]
	s_cbranch_execz .LBB6_1361
; %bb.1358:
	s_mov_b32 s5, 0
.LBB6_1359:                             ; =>This Inner Loop Header: Depth=1
	s_sleep 1
	s_clause 0x1
	global_load_b64 v[6:7], v0, s[2:3] offset:40
	global_load_b64 v[8:9], v0, s[2:3]
	v_mov_b64_e32 v[4:5], v[2:3]
	s_wait_loadcnt 0x1
	s_delay_alu instid0(VALU_DEP_1) | instskip(SKIP_1) | instid1(VALU_DEP_1)
	v_and_b32_e32 v1, v6, v4
	s_wait_loadcnt 0x0
	v_mad_nc_u64_u32 v[2:3], v1, 24, v[8:9]
	s_delay_alu instid0(VALU_DEP_3) | instskip(NEXT) | instid1(VALU_DEP_1)
	v_and_b32_e32 v1, v7, v5
	v_mad_u32 v3, v1, 24, v3
	global_load_b64 v[2:3], v[2:3], off scope:SCOPE_SYS
	s_wait_xcnt 0x0
	s_wait_loadcnt 0x0
	global_atomic_cmpswap_b64 v[2:3], v0, v[2:5], s[2:3] offset:24 th:TH_ATOMIC_RETURN scope:SCOPE_SYS
	s_wait_loadcnt 0x0
	global_inv scope:SCOPE_SYS
	v_cmp_eq_u64_e32 vcc_lo, v[2:3], v[4:5]
	s_or_b32 s5, vcc_lo, s5
	s_wait_xcnt 0x0
	s_and_not1_b32 exec_lo, exec_lo, s5
	s_cbranch_execnz .LBB6_1359
; %bb.1360:
	s_or_b32 exec_lo, exec_lo, s5
.LBB6_1361:
	s_delay_alu instid0(SALU_CYCLE_1)
	s_or_b32 exec_lo, exec_lo, s4
.LBB6_1362:
	s_delay_alu instid0(SALU_CYCLE_1)
	s_or_b32 exec_lo, exec_lo, s1
	v_readfirstlane_b32 s4, v2
	v_mov_b32_e32 v1, 0
	v_readfirstlane_b32 s5, v3
	s_mov_b32 s1, exec_lo
	s_wait_kmcnt 0x0
	s_clause 0x1
	global_load_b64 v[8:9], v1, s[2:3] offset:40
	global_load_b128 v[4:7], v1, s[2:3]
	s_wait_loadcnt 0x1
	v_and_b32_e32 v10, s4, v8
	v_and_b32_e32 v11, s5, v9
	s_delay_alu instid0(VALU_DEP_1) | instskip(SKIP_1) | instid1(VALU_DEP_1)
	v_mul_u64_e32 v[2:3], 24, v[10:11]
	s_wait_loadcnt 0x0
	v_add_nc_u64_e32 v[8:9], v[4:5], v[2:3]
	s_wait_xcnt 0x0
	s_and_saveexec_b32 s6, s0
	s_cbranch_execz .LBB6_1364
; %bb.1363:
	v_mov_b64_e32 v[2:3], 0x100000002
	v_mov_b32_e32 v0, s1
	global_store_b128 v[8:9], v[0:3], off offset:8
.LBB6_1364:
	s_wait_xcnt 0x0
	s_or_b32 exec_lo, exec_lo, s6
	v_lshlrev_b64_e32 v[2:3], 12, v[10:11]
	s_mov_b32 s8, 0
	v_dual_lshlrev_b32 v0, 6, v32 :: v_dual_mov_b32 v10, 33
	s_mov_b32 s10, s8
	s_mov_b32 s11, s8
	;; [unrolled: 1-line block ×3, first 2 shown]
	s_delay_alu instid0(VALU_DEP_2)
	v_add_nc_u64_e32 v[6:7], v[6:7], v[2:3]
	v_mov_b64_e32 v[16:17], s[10:11]
	v_mov_b64_e32 v[14:15], s[8:9]
	v_dual_mov_b32 v11, v1 :: v_dual_mov_b32 v12, v1
	v_mov_b32_e32 v13, v1
	v_readfirstlane_b32 s6, v6
	v_readfirstlane_b32 s7, v7
	s_clause 0x3
	global_store_b128 v0, v[10:13], s[6:7]
	global_store_b128 v0, v[14:17], s[6:7] offset:16
	global_store_b128 v0, v[14:17], s[6:7] offset:32
	;; [unrolled: 1-line block ×3, first 2 shown]
	s_wait_xcnt 0x0
	s_and_saveexec_b32 s1, s0
	s_cbranch_execz .LBB6_1372
; %bb.1365:
	v_dual_mov_b32 v12, 0 :: v_dual_mov_b32 v15, s5
	s_mov_b32 s6, exec_lo
	s_clause 0x1
	global_load_b64 v[16:17], v12, s[2:3] offset:32 scope:SCOPE_SYS
	global_load_b64 v[2:3], v12, s[2:3] offset:40
	s_wait_loadcnt 0x0
	v_dual_mov_b32 v14, s4 :: v_dual_bitop2_b32 v3, s5, v3 bitop3:0x40
	v_and_b32_e32 v2, s4, v2
	s_delay_alu instid0(VALU_DEP_1) | instskip(NEXT) | instid1(VALU_DEP_1)
	v_mul_u64_e32 v[2:3], 24, v[2:3]
	v_add_nc_u64_e32 v[10:11], v[4:5], v[2:3]
	global_store_b64 v[10:11], v[16:17], off
	global_wb scope:SCOPE_SYS
	s_wait_storecnt 0x0
	s_wait_xcnt 0x0
	global_atomic_cmpswap_b64 v[4:5], v12, v[14:17], s[2:3] offset:32 th:TH_ATOMIC_RETURN scope:SCOPE_SYS
	s_wait_loadcnt 0x0
	v_cmpx_ne_u64_e64 v[4:5], v[16:17]
	s_cbranch_execz .LBB6_1368
; %bb.1366:
	s_mov_b32 s7, 0
.LBB6_1367:                             ; =>This Inner Loop Header: Depth=1
	v_dual_mov_b32 v2, s4 :: v_dual_mov_b32 v3, s5
	s_sleep 1
	global_store_b64 v[10:11], v[4:5], off
	global_wb scope:SCOPE_SYS
	s_wait_storecnt 0x0
	s_wait_xcnt 0x0
	global_atomic_cmpswap_b64 v[2:3], v12, v[2:5], s[2:3] offset:32 th:TH_ATOMIC_RETURN scope:SCOPE_SYS
	s_wait_loadcnt 0x0
	v_cmp_eq_u64_e32 vcc_lo, v[2:3], v[4:5]
	v_mov_b64_e32 v[4:5], v[2:3]
	s_or_b32 s7, vcc_lo, s7
	s_delay_alu instid0(SALU_CYCLE_1)
	s_and_not1_b32 exec_lo, exec_lo, s7
	s_cbranch_execnz .LBB6_1367
.LBB6_1368:
	s_or_b32 exec_lo, exec_lo, s6
	v_mov_b32_e32 v5, 0
	s_mov_b32 s7, exec_lo
	s_mov_b32 s6, exec_lo
	v_mbcnt_lo_u32_b32 v4, s7, 0
	global_load_b64 v[2:3], v5, s[2:3] offset:16
	s_wait_xcnt 0x0
	v_cmpx_eq_u32_e32 0, v4
	s_cbranch_execz .LBB6_1370
; %bb.1369:
	s_bcnt1_i32_b32 s7, s7
	s_delay_alu instid0(SALU_CYCLE_1)
	v_mov_b32_e32 v4, s7
	global_wb scope:SCOPE_SYS
	s_wait_loadcnt 0x0
	s_wait_storecnt 0x0
	global_atomic_add_u64 v[2:3], v[4:5], off offset:8 scope:SCOPE_SYS
.LBB6_1370:
	s_wait_xcnt 0x0
	s_or_b32 exec_lo, exec_lo, s6
	s_wait_loadcnt 0x0
	global_load_b64 v[4:5], v[2:3], off offset:16
	s_wait_loadcnt 0x0
	v_cmp_eq_u64_e32 vcc_lo, 0, v[4:5]
	s_cbranch_vccnz .LBB6_1372
; %bb.1371:
	global_load_b32 v2, v[2:3], off offset:24
	s_wait_xcnt 0x0
	v_mov_b32_e32 v3, 0
	s_wait_loadcnt 0x0
	v_readfirstlane_b32 s6, v2
	global_wb scope:SCOPE_SYS
	s_wait_storecnt 0x0
	global_store_b64 v[4:5], v[2:3], off scope:SCOPE_SYS
	s_and_b32 m0, s6, 0xffffff
	s_sendmsg sendmsg(MSG_INTERRUPT)
.LBB6_1372:
	s_wait_xcnt 0x0
	s_or_b32 exec_lo, exec_lo, s1
	v_add_nc_u64_e32 v[2:3], v[6:7], v[0:1]
	s_branch .LBB6_1376
.LBB6_1373:                             ;   in Loop: Header=BB6_1376 Depth=1
	s_wait_xcnt 0x0
	s_or_b32 exec_lo, exec_lo, s1
	s_delay_alu instid0(VALU_DEP_1)
	v_readfirstlane_b32 s1, v1
	s_cmp_eq_u32 s1, 0
	s_cbranch_scc1 .LBB6_1375
; %bb.1374:                             ;   in Loop: Header=BB6_1376 Depth=1
	s_sleep 1
	s_cbranch_execnz .LBB6_1376
	s_branch .LBB6_1378
.LBB6_1375:
	s_branch .LBB6_1378
.LBB6_1376:                             ; =>This Inner Loop Header: Depth=1
	v_mov_b32_e32 v1, 1
	s_and_saveexec_b32 s1, s0
	s_cbranch_execz .LBB6_1373
; %bb.1377:                             ;   in Loop: Header=BB6_1376 Depth=1
	global_load_b32 v1, v[8:9], off offset:20 scope:SCOPE_SYS
	s_wait_loadcnt 0x0
	global_inv scope:SCOPE_SYS
	v_and_b32_e32 v1, 1, v1
	s_branch .LBB6_1373
.LBB6_1378:
	global_load_b64 v[2:3], v[2:3], off
	s_wait_xcnt 0x0
	s_and_saveexec_b32 s6, s0
	s_cbranch_execz .LBB6_1382
; %bb.1379:
	v_mov_b32_e32 v1, 0
	s_clause 0x2
	global_load_b64 v[4:5], v1, s[2:3] offset:40
	global_load_b64 v[12:13], v1, s[2:3] offset:24 scope:SCOPE_SYS
	global_load_b64 v[6:7], v1, s[2:3]
	s_wait_loadcnt 0x2
	v_readfirstlane_b32 s8, v4
	v_readfirstlane_b32 s9, v5
	s_add_nc_u64 s[0:1], s[8:9], 1
	s_delay_alu instid0(SALU_CYCLE_1) | instskip(NEXT) | instid1(SALU_CYCLE_1)
	s_add_nc_u64 s[4:5], s[0:1], s[4:5]
	s_cmp_eq_u64 s[4:5], 0
	s_cselect_b32 s1, s1, s5
	s_cselect_b32 s0, s0, s4
	v_mov_b32_e32 v11, s1
	s_and_b64 s[4:5], s[0:1], s[8:9]
	v_mov_b32_e32 v10, s0
	s_mul_u64 s[4:5], s[4:5], 24
	s_wait_loadcnt 0x0
	v_add_nc_u64_e32 v[8:9], s[4:5], v[6:7]
	global_store_b64 v[8:9], v[12:13], off
	global_wb scope:SCOPE_SYS
	s_wait_storecnt 0x0
	s_wait_xcnt 0x0
	global_atomic_cmpswap_b64 v[6:7], v1, v[10:13], s[2:3] offset:24 th:TH_ATOMIC_RETURN scope:SCOPE_SYS
	s_wait_loadcnt 0x0
	v_cmp_ne_u64_e32 vcc_lo, v[6:7], v[12:13]
	s_and_b32 exec_lo, exec_lo, vcc_lo
	s_cbranch_execz .LBB6_1382
; %bb.1380:
	s_mov_b32 s4, 0
.LBB6_1381:                             ; =>This Inner Loop Header: Depth=1
	v_dual_mov_b32 v4, s0 :: v_dual_mov_b32 v5, s1
	s_sleep 1
	global_store_b64 v[8:9], v[6:7], off
	global_wb scope:SCOPE_SYS
	s_wait_storecnt 0x0
	s_wait_xcnt 0x0
	global_atomic_cmpswap_b64 v[4:5], v1, v[4:7], s[2:3] offset:24 th:TH_ATOMIC_RETURN scope:SCOPE_SYS
	s_wait_loadcnt 0x0
	v_cmp_eq_u64_e32 vcc_lo, v[4:5], v[6:7]
	v_mov_b64_e32 v[6:7], v[4:5]
	s_or_b32 s4, vcc_lo, s4
	s_delay_alu instid0(SALU_CYCLE_1)
	s_and_not1_b32 exec_lo, exec_lo, s4
	s_cbranch_execnz .LBB6_1381
.LBB6_1382:
	s_or_b32 exec_lo, exec_lo, s6
	s_get_pc_i64 s[4:5]
	s_add_nc_u64 s[4:5], s[4:5], .str.28@rel64+4
	s_delay_alu instid0(SALU_CYCLE_1)
	s_cmp_lg_u64 s[4:5], 0
	s_cbranch_scc0 .LBB6_1468
; %bb.1383:
	v_mov_b64_e32 v[6:7], 0x100000002
	s_wait_loadcnt 0x0
	v_dual_mov_b32 v9, v3 :: v_dual_bitop2_b32 v8, -3, v2 bitop3:0x40
	v_mov_b32_e32 v5, 0
	s_mov_b64 s[6:7], 35
	s_branch .LBB6_1385
.LBB6_1384:                             ;   in Loop: Header=BB6_1385 Depth=1
	s_or_b32 exec_lo, exec_lo, s12
	s_sub_nc_u64 s[6:7], s[6:7], s[8:9]
	s_add_nc_u64 s[4:5], s[4:5], s[8:9]
	s_cmp_lg_u64 s[6:7], 0
	s_cbranch_scc0 .LBB6_1467
.LBB6_1385:                             ; =>This Loop Header: Depth=1
                                        ;     Child Loop BB6_1388 Depth 2
                                        ;     Child Loop BB6_1396 Depth 2
	;; [unrolled: 1-line block ×11, first 2 shown]
	s_wait_loadcnt 0x0
	v_min_u64 v[10:11], s[6:7], 56
	v_cmp_gt_u64_e64 s0, s[6:7], 7
	s_and_b32 vcc_lo, exec_lo, s0
	v_readfirstlane_b32 s8, v10
	v_readfirstlane_b32 s9, v11
	s_cbranch_vccnz .LBB6_1390
; %bb.1386:                             ;   in Loop: Header=BB6_1385 Depth=1
	v_mov_b64_e32 v[10:11], 0
	s_cmp_eq_u64 s[6:7], 0
	s_cbranch_scc1 .LBB6_1389
; %bb.1387:                             ;   in Loop: Header=BB6_1385 Depth=1
	s_mov_b64 s[0:1], 0
	s_mov_b64 s[10:11], 0
.LBB6_1388:                             ;   Parent Loop BB6_1385 Depth=1
                                        ; =>  This Inner Loop Header: Depth=2
	s_wait_xcnt 0x0
	s_add_nc_u64 s[12:13], s[4:5], s[10:11]
	s_add_nc_u64 s[10:11], s[10:11], 1
	global_load_u8 v1, v5, s[12:13]
	s_cmp_lg_u32 s8, s10
	s_wait_loadcnt 0x0
	v_and_b32_e32 v4, 0xffff, v1
	s_delay_alu instid0(VALU_DEP_1) | instskip(SKIP_1) | instid1(VALU_DEP_1)
	v_lshlrev_b64_e32 v[12:13], s0, v[4:5]
	s_add_nc_u64 s[0:1], s[0:1], 8
	v_or_b32_e32 v10, v12, v10
	s_delay_alu instid0(VALU_DEP_2)
	v_or_b32_e32 v11, v13, v11
	s_cbranch_scc1 .LBB6_1388
.LBB6_1389:                             ;   in Loop: Header=BB6_1385 Depth=1
	s_mov_b32 s0, 0
	s_mov_b64 s[10:11], s[4:5]
	s_branch .LBB6_1391
.LBB6_1390:                             ;   in Loop: Header=BB6_1385 Depth=1
	s_add_nc_u64 s[10:11], s[4:5], 8
	s_mov_b32 s0, -1
.LBB6_1391:                             ;   in Loop: Header=BB6_1385 Depth=1
	s_delay_alu instid0(SALU_CYCLE_1)
	s_and_not1_b32 vcc_lo, exec_lo, s0
	s_mov_b32 s14, 0
	s_cbranch_vccnz .LBB6_1393
; %bb.1392:                             ;   in Loop: Header=BB6_1385 Depth=1
	global_load_b64 v[10:11], v5, s[4:5]
	s_add_co_i32 s14, s8, -8
.LBB6_1393:                             ;   in Loop: Header=BB6_1385 Depth=1
	s_delay_alu instid0(SALU_CYCLE_1)
	s_cmp_gt_u32 s14, 7
	s_cbranch_scc1 .LBB6_1398
; %bb.1394:                             ;   in Loop: Header=BB6_1385 Depth=1
	v_mov_b64_e32 v[12:13], 0
	s_cmp_eq_u32 s14, 0
	s_cbranch_scc1 .LBB6_1397
; %bb.1395:                             ;   in Loop: Header=BB6_1385 Depth=1
	s_mov_b64 s[0:1], 0
	s_wait_xcnt 0x0
	s_mov_b64 s[12:13], 0
.LBB6_1396:                             ;   Parent Loop BB6_1385 Depth=1
                                        ; =>  This Inner Loop Header: Depth=2
	s_wait_xcnt 0x0
	s_add_nc_u64 s[20:21], s[10:11], s[12:13]
	s_add_nc_u64 s[12:13], s[12:13], 1
	global_load_u8 v1, v5, s[20:21]
	s_cmp_lg_u32 s14, s12
	s_wait_loadcnt 0x0
	v_and_b32_e32 v4, 0xffff, v1
	s_delay_alu instid0(VALU_DEP_1) | instskip(SKIP_1) | instid1(VALU_DEP_1)
	v_lshlrev_b64_e32 v[14:15], s0, v[4:5]
	s_add_nc_u64 s[0:1], s[0:1], 8
	v_or_b32_e32 v12, v14, v12
	s_delay_alu instid0(VALU_DEP_2)
	v_or_b32_e32 v13, v15, v13
	s_cbranch_scc1 .LBB6_1396
.LBB6_1397:                             ;   in Loop: Header=BB6_1385 Depth=1
	s_wait_xcnt 0x0
	s_mov_b32 s12, 0
	s_mov_b64 s[0:1], s[10:11]
	s_branch .LBB6_1399
.LBB6_1398:                             ;   in Loop: Header=BB6_1385 Depth=1
	s_add_nc_u64 s[0:1], s[10:11], 8
	s_wait_xcnt 0x0
	s_mov_b32 s12, -1
                                        ; implicit-def: $vgpr12_vgpr13
.LBB6_1399:                             ;   in Loop: Header=BB6_1385 Depth=1
	s_delay_alu instid0(SALU_CYCLE_1)
	s_and_not1_b32 vcc_lo, exec_lo, s12
	s_mov_b32 s15, 0
	s_cbranch_vccnz .LBB6_1401
; %bb.1400:                             ;   in Loop: Header=BB6_1385 Depth=1
	global_load_b64 v[12:13], v5, s[10:11]
	s_add_co_i32 s15, s14, -8
.LBB6_1401:                             ;   in Loop: Header=BB6_1385 Depth=1
	s_delay_alu instid0(SALU_CYCLE_1)
	s_cmp_gt_u32 s15, 7
	s_cbranch_scc1 .LBB6_1406
; %bb.1402:                             ;   in Loop: Header=BB6_1385 Depth=1
	v_mov_b64_e32 v[14:15], 0
	s_cmp_eq_u32 s15, 0
	s_cbranch_scc1 .LBB6_1405
; %bb.1403:                             ;   in Loop: Header=BB6_1385 Depth=1
	s_wait_xcnt 0x0
	s_mov_b64 s[10:11], 0
	s_mov_b64 s[12:13], 0
.LBB6_1404:                             ;   Parent Loop BB6_1385 Depth=1
                                        ; =>  This Inner Loop Header: Depth=2
	s_wait_xcnt 0x0
	s_add_nc_u64 s[20:21], s[0:1], s[12:13]
	s_add_nc_u64 s[12:13], s[12:13], 1
	global_load_u8 v1, v5, s[20:21]
	s_cmp_lg_u32 s15, s12
	s_wait_loadcnt 0x0
	v_and_b32_e32 v4, 0xffff, v1
	s_delay_alu instid0(VALU_DEP_1) | instskip(SKIP_1) | instid1(VALU_DEP_1)
	v_lshlrev_b64_e32 v[16:17], s10, v[4:5]
	s_add_nc_u64 s[10:11], s[10:11], 8
	v_or_b32_e32 v14, v16, v14
	s_delay_alu instid0(VALU_DEP_2)
	v_or_b32_e32 v15, v17, v15
	s_cbranch_scc1 .LBB6_1404
.LBB6_1405:                             ;   in Loop: Header=BB6_1385 Depth=1
	s_mov_b32 s12, 0
	s_wait_xcnt 0x0
	s_mov_b64 s[10:11], s[0:1]
	s_branch .LBB6_1407
.LBB6_1406:                             ;   in Loop: Header=BB6_1385 Depth=1
	s_wait_xcnt 0x0
	s_add_nc_u64 s[10:11], s[0:1], 8
	s_mov_b32 s12, -1
.LBB6_1407:                             ;   in Loop: Header=BB6_1385 Depth=1
	s_delay_alu instid0(SALU_CYCLE_1)
	s_and_not1_b32 vcc_lo, exec_lo, s12
	s_mov_b32 s14, 0
	s_cbranch_vccnz .LBB6_1409
; %bb.1408:                             ;   in Loop: Header=BB6_1385 Depth=1
	global_load_b64 v[14:15], v5, s[0:1]
	s_add_co_i32 s14, s15, -8
.LBB6_1409:                             ;   in Loop: Header=BB6_1385 Depth=1
	s_delay_alu instid0(SALU_CYCLE_1)
	s_cmp_gt_u32 s14, 7
	s_cbranch_scc1 .LBB6_1414
; %bb.1410:                             ;   in Loop: Header=BB6_1385 Depth=1
	v_mov_b64_e32 v[16:17], 0
	s_cmp_eq_u32 s14, 0
	s_cbranch_scc1 .LBB6_1413
; %bb.1411:                             ;   in Loop: Header=BB6_1385 Depth=1
	s_wait_xcnt 0x0
	s_mov_b64 s[0:1], 0
	s_mov_b64 s[12:13], 0
.LBB6_1412:                             ;   Parent Loop BB6_1385 Depth=1
                                        ; =>  This Inner Loop Header: Depth=2
	s_wait_xcnt 0x0
	s_add_nc_u64 s[20:21], s[10:11], s[12:13]
	s_add_nc_u64 s[12:13], s[12:13], 1
	global_load_u8 v1, v5, s[20:21]
	s_cmp_lg_u32 s14, s12
	s_wait_loadcnt 0x0
	v_and_b32_e32 v4, 0xffff, v1
	s_delay_alu instid0(VALU_DEP_1) | instskip(SKIP_1) | instid1(VALU_DEP_1)
	v_lshlrev_b64_e32 v[18:19], s0, v[4:5]
	s_add_nc_u64 s[0:1], s[0:1], 8
	v_or_b32_e32 v16, v18, v16
	s_delay_alu instid0(VALU_DEP_2)
	v_or_b32_e32 v17, v19, v17
	s_cbranch_scc1 .LBB6_1412
.LBB6_1413:                             ;   in Loop: Header=BB6_1385 Depth=1
	s_mov_b32 s12, 0
	s_wait_xcnt 0x0
	s_mov_b64 s[0:1], s[10:11]
	s_branch .LBB6_1415
.LBB6_1414:                             ;   in Loop: Header=BB6_1385 Depth=1
	s_wait_xcnt 0x0
	s_add_nc_u64 s[0:1], s[10:11], 8
	s_mov_b32 s12, -1
                                        ; implicit-def: $vgpr16_vgpr17
.LBB6_1415:                             ;   in Loop: Header=BB6_1385 Depth=1
	s_delay_alu instid0(SALU_CYCLE_1)
	s_and_not1_b32 vcc_lo, exec_lo, s12
	s_mov_b32 s15, 0
	s_cbranch_vccnz .LBB6_1417
; %bb.1416:                             ;   in Loop: Header=BB6_1385 Depth=1
	global_load_b64 v[16:17], v5, s[10:11]
	s_add_co_i32 s15, s14, -8
.LBB6_1417:                             ;   in Loop: Header=BB6_1385 Depth=1
	s_delay_alu instid0(SALU_CYCLE_1)
	s_cmp_gt_u32 s15, 7
	s_cbranch_scc1 .LBB6_1422
; %bb.1418:                             ;   in Loop: Header=BB6_1385 Depth=1
	v_mov_b64_e32 v[18:19], 0
	s_cmp_eq_u32 s15, 0
	s_cbranch_scc1 .LBB6_1421
; %bb.1419:                             ;   in Loop: Header=BB6_1385 Depth=1
	s_wait_xcnt 0x0
	s_mov_b64 s[10:11], 0
	s_mov_b64 s[12:13], 0
.LBB6_1420:                             ;   Parent Loop BB6_1385 Depth=1
                                        ; =>  This Inner Loop Header: Depth=2
	s_wait_xcnt 0x0
	s_add_nc_u64 s[20:21], s[0:1], s[12:13]
	s_add_nc_u64 s[12:13], s[12:13], 1
	global_load_u8 v1, v5, s[20:21]
	s_cmp_lg_u32 s15, s12
	s_wait_loadcnt 0x0
	v_and_b32_e32 v4, 0xffff, v1
	s_delay_alu instid0(VALU_DEP_1) | instskip(SKIP_1) | instid1(VALU_DEP_1)
	v_lshlrev_b64_e32 v[20:21], s10, v[4:5]
	s_add_nc_u64 s[10:11], s[10:11], 8
	v_or_b32_e32 v18, v20, v18
	s_delay_alu instid0(VALU_DEP_2)
	v_or_b32_e32 v19, v21, v19
	s_cbranch_scc1 .LBB6_1420
.LBB6_1421:                             ;   in Loop: Header=BB6_1385 Depth=1
	s_mov_b32 s12, 0
	s_wait_xcnt 0x0
	s_mov_b64 s[10:11], s[0:1]
	s_branch .LBB6_1423
.LBB6_1422:                             ;   in Loop: Header=BB6_1385 Depth=1
	s_wait_xcnt 0x0
	s_add_nc_u64 s[10:11], s[0:1], 8
	s_mov_b32 s12, -1
.LBB6_1423:                             ;   in Loop: Header=BB6_1385 Depth=1
	s_delay_alu instid0(SALU_CYCLE_1)
	s_and_not1_b32 vcc_lo, exec_lo, s12
	s_mov_b32 s14, 0
	s_cbranch_vccnz .LBB6_1425
; %bb.1424:                             ;   in Loop: Header=BB6_1385 Depth=1
	global_load_b64 v[18:19], v5, s[0:1]
	s_add_co_i32 s14, s15, -8
.LBB6_1425:                             ;   in Loop: Header=BB6_1385 Depth=1
	s_delay_alu instid0(SALU_CYCLE_1)
	s_cmp_gt_u32 s14, 7
	s_cbranch_scc1 .LBB6_1430
; %bb.1426:                             ;   in Loop: Header=BB6_1385 Depth=1
	v_mov_b64_e32 v[20:21], 0
	s_cmp_eq_u32 s14, 0
	s_cbranch_scc1 .LBB6_1429
; %bb.1427:                             ;   in Loop: Header=BB6_1385 Depth=1
	s_wait_xcnt 0x0
	s_mov_b64 s[0:1], 0
	s_mov_b64 s[12:13], 0
.LBB6_1428:                             ;   Parent Loop BB6_1385 Depth=1
                                        ; =>  This Inner Loop Header: Depth=2
	s_wait_xcnt 0x0
	s_add_nc_u64 s[20:21], s[10:11], s[12:13]
	s_add_nc_u64 s[12:13], s[12:13], 1
	global_load_u8 v1, v5, s[20:21]
	s_cmp_lg_u32 s14, s12
	s_wait_loadcnt 0x0
	v_and_b32_e32 v4, 0xffff, v1
	s_delay_alu instid0(VALU_DEP_1) | instskip(SKIP_1) | instid1(VALU_DEP_1)
	v_lshlrev_b64_e32 v[22:23], s0, v[4:5]
	s_add_nc_u64 s[0:1], s[0:1], 8
	v_or_b32_e32 v20, v22, v20
	s_delay_alu instid0(VALU_DEP_2)
	v_or_b32_e32 v21, v23, v21
	s_cbranch_scc1 .LBB6_1428
.LBB6_1429:                             ;   in Loop: Header=BB6_1385 Depth=1
	s_mov_b32 s12, 0
	s_wait_xcnt 0x0
	s_mov_b64 s[0:1], s[10:11]
	s_branch .LBB6_1431
.LBB6_1430:                             ;   in Loop: Header=BB6_1385 Depth=1
	s_wait_xcnt 0x0
	s_add_nc_u64 s[0:1], s[10:11], 8
	s_mov_b32 s12, -1
                                        ; implicit-def: $vgpr20_vgpr21
.LBB6_1431:                             ;   in Loop: Header=BB6_1385 Depth=1
	s_delay_alu instid0(SALU_CYCLE_1)
	s_and_not1_b32 vcc_lo, exec_lo, s12
	s_mov_b32 s15, 0
	s_cbranch_vccnz .LBB6_1433
; %bb.1432:                             ;   in Loop: Header=BB6_1385 Depth=1
	global_load_b64 v[20:21], v5, s[10:11]
	s_add_co_i32 s15, s14, -8
.LBB6_1433:                             ;   in Loop: Header=BB6_1385 Depth=1
	s_delay_alu instid0(SALU_CYCLE_1)
	s_cmp_gt_u32 s15, 7
	s_cbranch_scc1 .LBB6_1438
; %bb.1434:                             ;   in Loop: Header=BB6_1385 Depth=1
	v_mov_b64_e32 v[22:23], 0
	s_cmp_eq_u32 s15, 0
	s_cbranch_scc1 .LBB6_1437
; %bb.1435:                             ;   in Loop: Header=BB6_1385 Depth=1
	s_wait_xcnt 0x0
	s_mov_b64 s[10:11], 0
	s_mov_b64 s[12:13], s[0:1]
.LBB6_1436:                             ;   Parent Loop BB6_1385 Depth=1
                                        ; =>  This Inner Loop Header: Depth=2
	global_load_u8 v1, v5, s[12:13]
	s_add_co_i32 s15, s15, -1
	s_wait_xcnt 0x0
	s_add_nc_u64 s[12:13], s[12:13], 1
	s_cmp_lg_u32 s15, 0
	s_wait_loadcnt 0x0
	v_and_b32_e32 v4, 0xffff, v1
	s_delay_alu instid0(VALU_DEP_1) | instskip(SKIP_1) | instid1(VALU_DEP_1)
	v_lshlrev_b64_e32 v[24:25], s10, v[4:5]
	s_add_nc_u64 s[10:11], s[10:11], 8
	v_or_b32_e32 v22, v24, v22
	s_delay_alu instid0(VALU_DEP_2)
	v_or_b32_e32 v23, v25, v23
	s_cbranch_scc1 .LBB6_1436
.LBB6_1437:                             ;   in Loop: Header=BB6_1385 Depth=1
	s_wait_xcnt 0x0
	s_mov_b32 s10, 0
	s_branch .LBB6_1439
.LBB6_1438:                             ;   in Loop: Header=BB6_1385 Depth=1
	s_wait_xcnt 0x0
	s_mov_b32 s10, -1
.LBB6_1439:                             ;   in Loop: Header=BB6_1385 Depth=1
	s_delay_alu instid0(SALU_CYCLE_1)
	s_and_not1_b32 vcc_lo, exec_lo, s10
	s_cbranch_vccnz .LBB6_1441
; %bb.1440:                             ;   in Loop: Header=BB6_1385 Depth=1
	global_load_b64 v[22:23], v5, s[0:1]
.LBB6_1441:                             ;   in Loop: Header=BB6_1385 Depth=1
	s_wait_xcnt 0x0
	v_readfirstlane_b32 s0, v32
	v_mov_b64_e32 v[28:29], 0
	s_delay_alu instid0(VALU_DEP_2)
	v_cmp_eq_u32_e64 s0, s0, v32
	s_and_saveexec_b32 s1, s0
	s_cbranch_execz .LBB6_1447
; %bb.1442:                             ;   in Loop: Header=BB6_1385 Depth=1
	global_load_b64 v[26:27], v5, s[2:3] offset:24 scope:SCOPE_SYS
	s_wait_loadcnt 0x0
	global_inv scope:SCOPE_SYS
	s_clause 0x1
	global_load_b64 v[24:25], v5, s[2:3] offset:40
	global_load_b64 v[28:29], v5, s[2:3]
	s_mov_b32 s10, exec_lo
	s_wait_loadcnt 0x1
	v_and_b32_e32 v24, v24, v26
	v_and_b32_e32 v25, v25, v27
	s_delay_alu instid0(VALU_DEP_1) | instskip(SKIP_1) | instid1(VALU_DEP_1)
	v_mul_u64_e32 v[24:25], 24, v[24:25]
	s_wait_loadcnt 0x0
	v_add_nc_u64_e32 v[24:25], v[28:29], v[24:25]
	global_load_b64 v[24:25], v[24:25], off scope:SCOPE_SYS
	s_wait_xcnt 0x0
	s_wait_loadcnt 0x0
	global_atomic_cmpswap_b64 v[28:29], v5, v[24:27], s[2:3] offset:24 th:TH_ATOMIC_RETURN scope:SCOPE_SYS
	s_wait_loadcnt 0x0
	global_inv scope:SCOPE_SYS
	s_wait_xcnt 0x0
	v_cmpx_ne_u64_e64 v[28:29], v[26:27]
	s_cbranch_execz .LBB6_1446
; %bb.1443:                             ;   in Loop: Header=BB6_1385 Depth=1
	s_mov_b32 s11, 0
.LBB6_1444:                             ;   Parent Loop BB6_1385 Depth=1
                                        ; =>  This Inner Loop Header: Depth=2
	s_sleep 1
	s_clause 0x1
	global_load_b64 v[24:25], v5, s[2:3] offset:40
	global_load_b64 v[30:31], v5, s[2:3]
	v_mov_b64_e32 v[26:27], v[28:29]
	s_wait_loadcnt 0x1
	s_delay_alu instid0(VALU_DEP_1) | instskip(SKIP_1) | instid1(VALU_DEP_1)
	v_and_b32_e32 v1, v24, v26
	s_wait_loadcnt 0x0
	v_mad_nc_u64_u32 v[28:29], v1, 24, v[30:31]
	s_delay_alu instid0(VALU_DEP_3) | instskip(NEXT) | instid1(VALU_DEP_1)
	v_and_b32_e32 v1, v25, v27
	v_mad_u32 v29, v1, 24, v29
	global_load_b64 v[24:25], v[28:29], off scope:SCOPE_SYS
	s_wait_xcnt 0x0
	s_wait_loadcnt 0x0
	global_atomic_cmpswap_b64 v[28:29], v5, v[24:27], s[2:3] offset:24 th:TH_ATOMIC_RETURN scope:SCOPE_SYS
	s_wait_loadcnt 0x0
	global_inv scope:SCOPE_SYS
	v_cmp_eq_u64_e32 vcc_lo, v[28:29], v[26:27]
	s_or_b32 s11, vcc_lo, s11
	s_wait_xcnt 0x0
	s_and_not1_b32 exec_lo, exec_lo, s11
	s_cbranch_execnz .LBB6_1444
; %bb.1445:                             ;   in Loop: Header=BB6_1385 Depth=1
	s_or_b32 exec_lo, exec_lo, s11
.LBB6_1446:                             ;   in Loop: Header=BB6_1385 Depth=1
	s_delay_alu instid0(SALU_CYCLE_1)
	s_or_b32 exec_lo, exec_lo, s10
.LBB6_1447:                             ;   in Loop: Header=BB6_1385 Depth=1
	s_delay_alu instid0(SALU_CYCLE_1)
	s_or_b32 exec_lo, exec_lo, s1
	s_clause 0x1
	global_load_b64 v[30:31], v5, s[2:3] offset:40
	global_load_b128 v[24:27], v5, s[2:3]
	v_readfirstlane_b32 s10, v28
	v_readfirstlane_b32 s11, v29
	s_mov_b32 s1, exec_lo
	s_wait_loadcnt 0x1
	v_and_b32_e32 v30, s10, v30
	v_and_b32_e32 v31, s11, v31
	s_delay_alu instid0(VALU_DEP_1) | instskip(SKIP_1) | instid1(VALU_DEP_1)
	v_mul_u64_e32 v[28:29], 24, v[30:31]
	s_wait_loadcnt 0x0
	v_add_nc_u64_e32 v[28:29], v[24:25], v[28:29]
	s_wait_xcnt 0x0
	s_and_saveexec_b32 s12, s0
	s_cbranch_execz .LBB6_1449
; %bb.1448:                             ;   in Loop: Header=BB6_1385 Depth=1
	v_mov_b32_e32 v4, s1
	global_store_b128 v[28:29], v[4:7], off offset:8
.LBB6_1449:                             ;   in Loop: Header=BB6_1385 Depth=1
	s_wait_xcnt 0x0
	s_or_b32 exec_lo, exec_lo, s12
	v_cmp_gt_u64_e64 s1, s[6:7], 56
	v_lshlrev_b64_e32 v[30:31], 12, v[30:31]
	v_and_b32_e32 v1, 0xffffff1f, v8
	s_and_b32 s1, s1, exec_lo
	s_delay_alu instid0(VALU_DEP_2) | instskip(SKIP_4) | instid1(VALU_DEP_2)
	v_add_nc_u64_e32 v[26:27], v[26:27], v[30:31]
	s_cselect_b32 s1, 0, 2
	s_lshl_b32 s12, s8, 2
	v_or_b32_e32 v1, s1, v1
	s_add_co_i32 s1, s12, 28
	v_readfirstlane_b32 s12, v26
	s_delay_alu instid0(VALU_DEP_3) | instskip(NEXT) | instid1(VALU_DEP_3)
	v_readfirstlane_b32 s13, v27
	v_and_or_b32 v8, 0x1e0, s1, v1
	s_clause 0x3
	global_store_b128 v0, v[8:11], s[12:13]
	global_store_b128 v0, v[12:15], s[12:13] offset:16
	global_store_b128 v0, v[16:19], s[12:13] offset:32
	;; [unrolled: 1-line block ×3, first 2 shown]
	s_wait_xcnt 0x0
	s_and_saveexec_b32 s1, s0
	s_cbranch_execz .LBB6_1457
; %bb.1450:                             ;   in Loop: Header=BB6_1385 Depth=1
	s_clause 0x1
	global_load_b64 v[16:17], v5, s[2:3] offset:32 scope:SCOPE_SYS
	global_load_b64 v[8:9], v5, s[2:3] offset:40
	s_mov_b32 s12, exec_lo
	v_dual_mov_b32 v14, s10 :: v_dual_mov_b32 v15, s11
	s_wait_loadcnt 0x0
	v_and_b32_e32 v9, s11, v9
	v_and_b32_e32 v8, s10, v8
	s_delay_alu instid0(VALU_DEP_1) | instskip(NEXT) | instid1(VALU_DEP_1)
	v_mul_u64_e32 v[8:9], 24, v[8:9]
	v_add_nc_u64_e32 v[12:13], v[24:25], v[8:9]
	global_store_b64 v[12:13], v[16:17], off
	global_wb scope:SCOPE_SYS
	s_wait_storecnt 0x0
	s_wait_xcnt 0x0
	global_atomic_cmpswap_b64 v[10:11], v5, v[14:17], s[2:3] offset:32 th:TH_ATOMIC_RETURN scope:SCOPE_SYS
	s_wait_loadcnt 0x0
	v_cmpx_ne_u64_e64 v[10:11], v[16:17]
	s_cbranch_execz .LBB6_1453
; %bb.1451:                             ;   in Loop: Header=BB6_1385 Depth=1
	s_mov_b32 s13, 0
.LBB6_1452:                             ;   Parent Loop BB6_1385 Depth=1
                                        ; =>  This Inner Loop Header: Depth=2
	v_dual_mov_b32 v8, s10 :: v_dual_mov_b32 v9, s11
	s_sleep 1
	global_store_b64 v[12:13], v[10:11], off
	global_wb scope:SCOPE_SYS
	s_wait_storecnt 0x0
	s_wait_xcnt 0x0
	global_atomic_cmpswap_b64 v[8:9], v5, v[8:11], s[2:3] offset:32 th:TH_ATOMIC_RETURN scope:SCOPE_SYS
	s_wait_loadcnt 0x0
	v_cmp_eq_u64_e32 vcc_lo, v[8:9], v[10:11]
	v_mov_b64_e32 v[10:11], v[8:9]
	s_or_b32 s13, vcc_lo, s13
	s_delay_alu instid0(SALU_CYCLE_1)
	s_and_not1_b32 exec_lo, exec_lo, s13
	s_cbranch_execnz .LBB6_1452
.LBB6_1453:                             ;   in Loop: Header=BB6_1385 Depth=1
	s_or_b32 exec_lo, exec_lo, s12
	global_load_b64 v[8:9], v5, s[2:3] offset:16
	s_mov_b32 s13, exec_lo
	s_mov_b32 s12, exec_lo
	v_mbcnt_lo_u32_b32 v1, s13, 0
	s_wait_xcnt 0x0
	s_delay_alu instid0(VALU_DEP_1)
	v_cmpx_eq_u32_e32 0, v1
	s_cbranch_execz .LBB6_1455
; %bb.1454:                             ;   in Loop: Header=BB6_1385 Depth=1
	s_bcnt1_i32_b32 s13, s13
	s_delay_alu instid0(SALU_CYCLE_1)
	v_mov_b32_e32 v4, s13
	global_wb scope:SCOPE_SYS
	s_wait_loadcnt 0x0
	s_wait_storecnt 0x0
	global_atomic_add_u64 v[8:9], v[4:5], off offset:8 scope:SCOPE_SYS
.LBB6_1455:                             ;   in Loop: Header=BB6_1385 Depth=1
	s_wait_xcnt 0x0
	s_or_b32 exec_lo, exec_lo, s12
	s_wait_loadcnt 0x0
	global_load_b64 v[10:11], v[8:9], off offset:16
	s_wait_loadcnt 0x0
	v_cmp_eq_u64_e32 vcc_lo, 0, v[10:11]
	s_cbranch_vccnz .LBB6_1457
; %bb.1456:                             ;   in Loop: Header=BB6_1385 Depth=1
	global_load_b32 v4, v[8:9], off offset:24
	s_wait_loadcnt 0x0
	v_readfirstlane_b32 s12, v4
	global_wb scope:SCOPE_SYS
	s_wait_storecnt 0x0
	s_wait_xcnt 0x0
	global_store_b64 v[10:11], v[4:5], off scope:SCOPE_SYS
	s_and_b32 m0, s12, 0xffffff
	s_sendmsg sendmsg(MSG_INTERRUPT)
.LBB6_1457:                             ;   in Loop: Header=BB6_1385 Depth=1
	s_wait_xcnt 0x0
	s_or_b32 exec_lo, exec_lo, s1
	v_mov_b32_e32 v1, v5
	s_delay_alu instid0(VALU_DEP_1)
	v_add_nc_u64_e32 v[8:9], v[26:27], v[0:1]
	s_branch .LBB6_1461
.LBB6_1458:                             ;   in Loop: Header=BB6_1461 Depth=2
	s_wait_xcnt 0x0
	s_or_b32 exec_lo, exec_lo, s1
	s_delay_alu instid0(VALU_DEP_1)
	v_readfirstlane_b32 s1, v1
	s_cmp_eq_u32 s1, 0
	s_cbranch_scc1 .LBB6_1460
; %bb.1459:                             ;   in Loop: Header=BB6_1461 Depth=2
	s_sleep 1
	s_cbranch_execnz .LBB6_1461
	s_branch .LBB6_1463
.LBB6_1460:                             ;   in Loop: Header=BB6_1385 Depth=1
	s_branch .LBB6_1463
.LBB6_1461:                             ;   Parent Loop BB6_1385 Depth=1
                                        ; =>  This Inner Loop Header: Depth=2
	v_mov_b32_e32 v1, 1
	s_and_saveexec_b32 s1, s0
	s_cbranch_execz .LBB6_1458
; %bb.1462:                             ;   in Loop: Header=BB6_1461 Depth=2
	global_load_b32 v1, v[28:29], off offset:20 scope:SCOPE_SYS
	s_wait_loadcnt 0x0
	global_inv scope:SCOPE_SYS
	v_and_b32_e32 v1, 1, v1
	s_branch .LBB6_1458
.LBB6_1463:                             ;   in Loop: Header=BB6_1385 Depth=1
	global_load_b128 v[8:11], v[8:9], off
	s_wait_xcnt 0x0
	s_and_saveexec_b32 s12, s0
	s_cbranch_execz .LBB6_1384
; %bb.1464:                             ;   in Loop: Header=BB6_1385 Depth=1
	s_wait_loadcnt 0x0
	s_clause 0x2
	global_load_b64 v[10:11], v5, s[2:3] offset:40
	global_load_b64 v[18:19], v5, s[2:3] offset:24 scope:SCOPE_SYS
	global_load_b64 v[12:13], v5, s[2:3]
	s_wait_loadcnt 0x2
	v_readfirstlane_b32 s14, v10
	v_readfirstlane_b32 s15, v11
	s_add_nc_u64 s[0:1], s[14:15], 1
	s_delay_alu instid0(SALU_CYCLE_1) | instskip(NEXT) | instid1(SALU_CYCLE_1)
	s_add_nc_u64 s[10:11], s[0:1], s[10:11]
	s_cmp_eq_u64 s[10:11], 0
	s_cselect_b32 s1, s1, s11
	s_cselect_b32 s0, s0, s10
	s_delay_alu instid0(SALU_CYCLE_1) | instskip(SKIP_1) | instid1(SALU_CYCLE_1)
	v_dual_mov_b32 v17, s1 :: v_dual_mov_b32 v16, s0
	s_and_b64 s[10:11], s[0:1], s[14:15]
	s_mul_u64 s[10:11], s[10:11], 24
	s_wait_loadcnt 0x0
	v_add_nc_u64_e32 v[14:15], s[10:11], v[12:13]
	global_store_b64 v[14:15], v[18:19], off
	global_wb scope:SCOPE_SYS
	s_wait_storecnt 0x0
	s_wait_xcnt 0x0
	global_atomic_cmpswap_b64 v[12:13], v5, v[16:19], s[2:3] offset:24 th:TH_ATOMIC_RETURN scope:SCOPE_SYS
	s_wait_loadcnt 0x0
	v_cmp_ne_u64_e32 vcc_lo, v[12:13], v[18:19]
	s_and_b32 exec_lo, exec_lo, vcc_lo
	s_cbranch_execz .LBB6_1384
; %bb.1465:                             ;   in Loop: Header=BB6_1385 Depth=1
	s_mov_b32 s10, 0
.LBB6_1466:                             ;   Parent Loop BB6_1385 Depth=1
                                        ; =>  This Inner Loop Header: Depth=2
	v_dual_mov_b32 v10, s0 :: v_dual_mov_b32 v11, s1
	s_sleep 1
	global_store_b64 v[14:15], v[12:13], off
	global_wb scope:SCOPE_SYS
	s_wait_storecnt 0x0
	s_wait_xcnt 0x0
	global_atomic_cmpswap_b64 v[10:11], v5, v[10:13], s[2:3] offset:24 th:TH_ATOMIC_RETURN scope:SCOPE_SYS
	s_wait_loadcnt 0x0
	v_cmp_eq_u64_e32 vcc_lo, v[10:11], v[12:13]
	v_mov_b64_e32 v[12:13], v[10:11]
	s_or_b32 s10, vcc_lo, s10
	s_delay_alu instid0(SALU_CYCLE_1)
	s_and_not1_b32 exec_lo, exec_lo, s10
	s_cbranch_execnz .LBB6_1466
	s_branch .LBB6_1384
.LBB6_1467:
	s_mov_b32 s0, 0
	s_branch .LBB6_1469
.LBB6_1468:
	s_mov_b32 s0, -1
.LBB6_1469:
	s_delay_alu instid0(SALU_CYCLE_1)
	s_and_b32 vcc_lo, exec_lo, s0
	s_cbranch_vccz .LBB6_1497
; %bb.1470:
	v_readfirstlane_b32 s0, v32
	s_wait_loadcnt 0x0
	v_mov_b64_e32 v[10:11], 0
	s_delay_alu instid0(VALU_DEP_2)
	v_cmp_eq_u32_e64 s0, s0, v32
	s_and_saveexec_b32 s1, s0
	s_cbranch_execz .LBB6_1476
; %bb.1471:
	v_mov_b32_e32 v1, 0
	s_mov_b32 s4, exec_lo
	global_load_b64 v[6:7], v1, s[2:3] offset:24 scope:SCOPE_SYS
	s_wait_loadcnt 0x0
	global_inv scope:SCOPE_SYS
	s_clause 0x1
	global_load_b64 v[4:5], v1, s[2:3] offset:40
	global_load_b64 v[8:9], v1, s[2:3]
	s_wait_loadcnt 0x1
	v_and_b32_e32 v4, v4, v6
	v_and_b32_e32 v5, v5, v7
	s_delay_alu instid0(VALU_DEP_1) | instskip(SKIP_1) | instid1(VALU_DEP_1)
	v_mul_u64_e32 v[4:5], 24, v[4:5]
	s_wait_loadcnt 0x0
	v_add_nc_u64_e32 v[4:5], v[8:9], v[4:5]
	global_load_b64 v[4:5], v[4:5], off scope:SCOPE_SYS
	s_wait_xcnt 0x0
	s_wait_loadcnt 0x0
	global_atomic_cmpswap_b64 v[10:11], v1, v[4:7], s[2:3] offset:24 th:TH_ATOMIC_RETURN scope:SCOPE_SYS
	s_wait_loadcnt 0x0
	global_inv scope:SCOPE_SYS
	s_wait_xcnt 0x0
	v_cmpx_ne_u64_e64 v[10:11], v[6:7]
	s_cbranch_execz .LBB6_1475
; %bb.1472:
	s_mov_b32 s5, 0
.LBB6_1473:                             ; =>This Inner Loop Header: Depth=1
	s_sleep 1
	s_clause 0x1
	global_load_b64 v[4:5], v1, s[2:3] offset:40
	global_load_b64 v[8:9], v1, s[2:3]
	v_mov_b64_e32 v[6:7], v[10:11]
	s_wait_loadcnt 0x1
	s_delay_alu instid0(VALU_DEP_1) | instskip(SKIP_1) | instid1(VALU_DEP_1)
	v_and_b32_e32 v4, v4, v6
	s_wait_loadcnt 0x0
	v_mad_nc_u64_u32 v[8:9], v4, 24, v[8:9]
	s_delay_alu instid0(VALU_DEP_3) | instskip(NEXT) | instid1(VALU_DEP_1)
	v_and_b32_e32 v4, v5, v7
	v_mad_u32 v9, v4, 24, v9
	global_load_b64 v[4:5], v[8:9], off scope:SCOPE_SYS
	s_wait_xcnt 0x0
	s_wait_loadcnt 0x0
	global_atomic_cmpswap_b64 v[10:11], v1, v[4:7], s[2:3] offset:24 th:TH_ATOMIC_RETURN scope:SCOPE_SYS
	s_wait_loadcnt 0x0
	global_inv scope:SCOPE_SYS
	v_cmp_eq_u64_e32 vcc_lo, v[10:11], v[6:7]
	s_or_b32 s5, vcc_lo, s5
	s_wait_xcnt 0x0
	s_and_not1_b32 exec_lo, exec_lo, s5
	s_cbranch_execnz .LBB6_1473
; %bb.1474:
	s_or_b32 exec_lo, exec_lo, s5
.LBB6_1475:
	s_delay_alu instid0(SALU_CYCLE_1)
	s_or_b32 exec_lo, exec_lo, s4
.LBB6_1476:
	s_delay_alu instid0(SALU_CYCLE_1)
	s_or_b32 exec_lo, exec_lo, s1
	v_readfirstlane_b32 s4, v10
	v_mov_b32_e32 v4, 0
	v_readfirstlane_b32 s5, v11
	s_mov_b32 s1, exec_lo
	s_clause 0x1
	global_load_b64 v[12:13], v4, s[2:3] offset:40
	global_load_b128 v[6:9], v4, s[2:3]
	s_wait_loadcnt 0x1
	v_and_b32_e32 v12, s4, v12
	v_and_b32_e32 v13, s5, v13
	s_delay_alu instid0(VALU_DEP_1) | instskip(SKIP_1) | instid1(VALU_DEP_1)
	v_mul_u64_e32 v[10:11], 24, v[12:13]
	s_wait_loadcnt 0x0
	v_add_nc_u64_e32 v[10:11], v[6:7], v[10:11]
	s_wait_xcnt 0x0
	s_and_saveexec_b32 s6, s0
	s_cbranch_execz .LBB6_1478
; %bb.1477:
	v_mov_b64_e32 v[16:17], 0x100000002
	v_dual_mov_b32 v14, s1 :: v_dual_mov_b32 v15, v4
	global_store_b128 v[10:11], v[14:17], off offset:8
.LBB6_1478:
	s_wait_xcnt 0x0
	s_or_b32 exec_lo, exec_lo, s6
	v_lshlrev_b64_e32 v[12:13], 12, v[12:13]
	s_mov_b32 s8, 0
	v_and_or_b32 v2, 0xffffff1d, v2, 34
	s_mov_b32 s10, s8
	s_mov_b32 s11, s8
	;; [unrolled: 1-line block ×3, first 2 shown]
	v_mov_b32_e32 v5, v4
	v_add_nc_u64_e32 v[8:9], v[8:9], v[12:13]
	v_mov_b64_e32 v[14:15], s[10:11]
	v_mov_b64_e32 v[12:13], s[8:9]
	s_delay_alu instid0(VALU_DEP_3) | instskip(NEXT) | instid1(VALU_DEP_4)
	v_readfirstlane_b32 s6, v8
	v_readfirstlane_b32 s7, v9
	s_clause 0x3
	global_store_b128 v0, v[2:5], s[6:7]
	global_store_b128 v0, v[12:15], s[6:7] offset:16
	global_store_b128 v0, v[12:15], s[6:7] offset:32
	;; [unrolled: 1-line block ×3, first 2 shown]
	s_wait_xcnt 0x0
	s_and_saveexec_b32 s1, s0
	s_cbranch_execz .LBB6_1486
; %bb.1479:
	v_dual_mov_b32 v8, 0 :: v_dual_mov_b32 v13, s5
	s_mov_b32 s6, exec_lo
	s_clause 0x1
	global_load_b64 v[14:15], v8, s[2:3] offset:32 scope:SCOPE_SYS
	global_load_b64 v[0:1], v8, s[2:3] offset:40
	s_wait_loadcnt 0x0
	v_dual_mov_b32 v12, s4 :: v_dual_bitop2_b32 v1, s5, v1 bitop3:0x40
	v_and_b32_e32 v0, s4, v0
	s_delay_alu instid0(VALU_DEP_1) | instskip(NEXT) | instid1(VALU_DEP_1)
	v_mul_u64_e32 v[0:1], 24, v[0:1]
	v_add_nc_u64_e32 v[4:5], v[6:7], v[0:1]
	global_store_b64 v[4:5], v[14:15], off
	global_wb scope:SCOPE_SYS
	s_wait_storecnt 0x0
	s_wait_xcnt 0x0
	global_atomic_cmpswap_b64 v[2:3], v8, v[12:15], s[2:3] offset:32 th:TH_ATOMIC_RETURN scope:SCOPE_SYS
	s_wait_loadcnt 0x0
	v_cmpx_ne_u64_e64 v[2:3], v[14:15]
	s_cbranch_execz .LBB6_1482
; %bb.1480:
	s_mov_b32 s7, 0
.LBB6_1481:                             ; =>This Inner Loop Header: Depth=1
	v_dual_mov_b32 v0, s4 :: v_dual_mov_b32 v1, s5
	s_sleep 1
	global_store_b64 v[4:5], v[2:3], off
	global_wb scope:SCOPE_SYS
	s_wait_storecnt 0x0
	s_wait_xcnt 0x0
	global_atomic_cmpswap_b64 v[0:1], v8, v[0:3], s[2:3] offset:32 th:TH_ATOMIC_RETURN scope:SCOPE_SYS
	s_wait_loadcnt 0x0
	v_cmp_eq_u64_e32 vcc_lo, v[0:1], v[2:3]
	v_mov_b64_e32 v[2:3], v[0:1]
	s_or_b32 s7, vcc_lo, s7
	s_delay_alu instid0(SALU_CYCLE_1)
	s_and_not1_b32 exec_lo, exec_lo, s7
	s_cbranch_execnz .LBB6_1481
.LBB6_1482:
	s_or_b32 exec_lo, exec_lo, s6
	v_mov_b32_e32 v3, 0
	s_mov_b32 s7, exec_lo
	s_mov_b32 s6, exec_lo
	v_mbcnt_lo_u32_b32 v2, s7, 0
	global_load_b64 v[0:1], v3, s[2:3] offset:16
	s_wait_xcnt 0x0
	v_cmpx_eq_u32_e32 0, v2
	s_cbranch_execz .LBB6_1484
; %bb.1483:
	s_bcnt1_i32_b32 s7, s7
	s_delay_alu instid0(SALU_CYCLE_1)
	v_mov_b32_e32 v2, s7
	global_wb scope:SCOPE_SYS
	s_wait_loadcnt 0x0
	s_wait_storecnt 0x0
	global_atomic_add_u64 v[0:1], v[2:3], off offset:8 scope:SCOPE_SYS
.LBB6_1484:
	s_wait_xcnt 0x0
	s_or_b32 exec_lo, exec_lo, s6
	s_wait_loadcnt 0x0
	global_load_b64 v[2:3], v[0:1], off offset:16
	s_wait_loadcnt 0x0
	v_cmp_eq_u64_e32 vcc_lo, 0, v[2:3]
	s_cbranch_vccnz .LBB6_1486
; %bb.1485:
	global_load_b32 v0, v[0:1], off offset:24
	s_wait_xcnt 0x0
	v_mov_b32_e32 v1, 0
	s_wait_loadcnt 0x0
	v_readfirstlane_b32 s6, v0
	global_wb scope:SCOPE_SYS
	s_wait_storecnt 0x0
	global_store_b64 v[2:3], v[0:1], off scope:SCOPE_SYS
	s_and_b32 m0, s6, 0xffffff
	s_sendmsg sendmsg(MSG_INTERRUPT)
.LBB6_1486:
	s_wait_xcnt 0x0
	s_or_b32 exec_lo, exec_lo, s1
	s_branch .LBB6_1490
.LBB6_1487:                             ;   in Loop: Header=BB6_1490 Depth=1
	s_wait_xcnt 0x0
	s_or_b32 exec_lo, exec_lo, s1
	s_delay_alu instid0(VALU_DEP_1)
	v_readfirstlane_b32 s1, v0
	s_cmp_eq_u32 s1, 0
	s_cbranch_scc1 .LBB6_1489
; %bb.1488:                             ;   in Loop: Header=BB6_1490 Depth=1
	s_sleep 1
	s_cbranch_execnz .LBB6_1490
	s_branch .LBB6_1492
.LBB6_1489:
	s_branch .LBB6_1492
.LBB6_1490:                             ; =>This Inner Loop Header: Depth=1
	v_mov_b32_e32 v0, 1
	s_and_saveexec_b32 s1, s0
	s_cbranch_execz .LBB6_1487
; %bb.1491:                             ;   in Loop: Header=BB6_1490 Depth=1
	global_load_b32 v0, v[10:11], off offset:20 scope:SCOPE_SYS
	s_wait_loadcnt 0x0
	global_inv scope:SCOPE_SYS
	v_and_b32_e32 v0, 1, v0
	s_branch .LBB6_1487
.LBB6_1492:
	s_and_saveexec_b32 s6, s0
	s_cbranch_execz .LBB6_1496
; %bb.1493:
	v_mov_b32_e32 v6, 0
	s_clause 0x2
	global_load_b64 v[0:1], v6, s[2:3] offset:40
	global_load_b64 v[10:11], v6, s[2:3] offset:24 scope:SCOPE_SYS
	global_load_b64 v[2:3], v6, s[2:3]
	s_wait_loadcnt 0x2
	v_readfirstlane_b32 s8, v0
	v_readfirstlane_b32 s9, v1
	s_add_nc_u64 s[0:1], s[8:9], 1
	s_delay_alu instid0(SALU_CYCLE_1) | instskip(NEXT) | instid1(SALU_CYCLE_1)
	s_add_nc_u64 s[4:5], s[0:1], s[4:5]
	s_cmp_eq_u64 s[4:5], 0
	s_cselect_b32 s1, s1, s5
	s_cselect_b32 s0, s0, s4
	v_mov_b32_e32 v9, s1
	s_and_b64 s[4:5], s[0:1], s[8:9]
	v_mov_b32_e32 v8, s0
	s_mul_u64 s[4:5], s[4:5], 24
	s_wait_loadcnt 0x0
	v_add_nc_u64_e32 v[4:5], s[4:5], v[2:3]
	global_store_b64 v[4:5], v[10:11], off
	global_wb scope:SCOPE_SYS
	s_wait_storecnt 0x0
	s_wait_xcnt 0x0
	global_atomic_cmpswap_b64 v[2:3], v6, v[8:11], s[2:3] offset:24 th:TH_ATOMIC_RETURN scope:SCOPE_SYS
	s_wait_loadcnt 0x0
	v_cmp_ne_u64_e32 vcc_lo, v[2:3], v[10:11]
	s_and_b32 exec_lo, exec_lo, vcc_lo
	s_cbranch_execz .LBB6_1496
; %bb.1494:
	s_mov_b32 s4, 0
.LBB6_1495:                             ; =>This Inner Loop Header: Depth=1
	v_dual_mov_b32 v0, s0 :: v_dual_mov_b32 v1, s1
	s_sleep 1
	global_store_b64 v[4:5], v[2:3], off
	global_wb scope:SCOPE_SYS
	s_wait_storecnt 0x0
	s_wait_xcnt 0x0
	global_atomic_cmpswap_b64 v[0:1], v6, v[0:3], s[2:3] offset:24 th:TH_ATOMIC_RETURN scope:SCOPE_SYS
	s_wait_loadcnt 0x0
	v_cmp_eq_u64_e32 vcc_lo, v[0:1], v[2:3]
	v_mov_b64_e32 v[2:3], v[0:1]
	s_or_b32 s4, vcc_lo, s4
	s_delay_alu instid0(SALU_CYCLE_1)
	s_and_not1_b32 exec_lo, exec_lo, s4
	s_cbranch_execnz .LBB6_1495
.LBB6_1496:
	s_or_b32 exec_lo, exec_lo, s6
.LBB6_1497:
	s_get_pc_i64 s[0:1]
	s_add_nc_u64 s[0:1], s[0:1], .str.29@rel64+4
	s_get_pc_i64 s[2:3]
	s_add_nc_u64 s[2:3], s[2:3], .str.19@rel64+4
	s_get_pc_i64 s[4:5]
	s_add_nc_u64 s[4:5], s[4:5], __PRETTY_FUNCTION__._ZN7VecsMemIjLi8192EE5fetchEi@rel64+4
	v_dual_mov_b32 v0, s0 :: v_dual_mov_b32 v1, s1
	s_wait_loadcnt 0x0
	v_dual_mov_b32 v2, s2 :: v_dual_mov_b32 v3, s3
	v_dual_mov_b32 v4, 12 :: v_dual_mov_b32 v5, s4
	v_mov_b32_e32 v6, s5
	s_get_pc_i64 s[6:7]
	s_add_nc_u64 s[6:7], s[6:7], __assert_fail@rel64+4
	s_mov_b64 s[8:9], s[52:53]
	s_swap_pc_i64 s[30:31], s[6:7]
	s_or_b32 s18, s18, exec_lo
.LBB6_1498:
	s_or_b32 exec_lo, exec_lo, s19
	v_readlane_b32 s0, v73, 0
	s_and_b32 s1, s18, exec_lo
	s_and_b32 s17, s17, exec_lo
	s_and_not1_b32 s0, s0, exec_lo
	s_delay_alu instid0(SALU_CYCLE_1)
	s_or_b32 s18, s0, s1
	v_readlane_b32 s0, v73, 21
.LBB6_1499:
	s_delay_alu instid0(VALU_DEP_1)
	s_and_not1_saveexec_b32 s19, s0
	s_cbranch_execz .LBB6_1642
; %bb.1500:
	s_load_b64 s[2:3], s[52:53], 0x50
	v_mbcnt_lo_u32_b32 v32, -1, 0
	v_mov_b64_e32 v[2:3], 0
	s_delay_alu instid0(VALU_DEP_2) | instskip(NEXT) | instid1(VALU_DEP_1)
	v_readfirstlane_b32 s0, v32
	v_cmp_eq_u32_e64 s0, s0, v32
	s_and_saveexec_b32 s1, s0
	s_cbranch_execz .LBB6_1506
; %bb.1501:
	v_mov_b32_e32 v0, 0
	s_mov_b32 s4, exec_lo
	s_wait_kmcnt 0x0
	global_load_b64 v[4:5], v0, s[2:3] offset:24 scope:SCOPE_SYS
	s_wait_loadcnt 0x0
	global_inv scope:SCOPE_SYS
	s_clause 0x1
	global_load_b64 v[2:3], v0, s[2:3] offset:40
	global_load_b64 v[6:7], v0, s[2:3]
	s_wait_loadcnt 0x1
	v_and_b32_e32 v2, v2, v4
	v_and_b32_e32 v3, v3, v5
	s_delay_alu instid0(VALU_DEP_1) | instskip(SKIP_1) | instid1(VALU_DEP_1)
	v_mul_u64_e32 v[2:3], 24, v[2:3]
	s_wait_loadcnt 0x0
	v_add_nc_u64_e32 v[2:3], v[6:7], v[2:3]
	global_load_b64 v[2:3], v[2:3], off scope:SCOPE_SYS
	s_wait_xcnt 0x0
	s_wait_loadcnt 0x0
	global_atomic_cmpswap_b64 v[2:3], v0, v[2:5], s[2:3] offset:24 th:TH_ATOMIC_RETURN scope:SCOPE_SYS
	s_wait_loadcnt 0x0
	global_inv scope:SCOPE_SYS
	s_wait_xcnt 0x0
	v_cmpx_ne_u64_e64 v[2:3], v[4:5]
	s_cbranch_execz .LBB6_1505
; %bb.1502:
	s_mov_b32 s5, 0
.LBB6_1503:                             ; =>This Inner Loop Header: Depth=1
	s_sleep 1
	s_clause 0x1
	global_load_b64 v[6:7], v0, s[2:3] offset:40
	global_load_b64 v[8:9], v0, s[2:3]
	v_mov_b64_e32 v[4:5], v[2:3]
	s_wait_loadcnt 0x1
	s_delay_alu instid0(VALU_DEP_1) | instskip(SKIP_1) | instid1(VALU_DEP_1)
	v_and_b32_e32 v1, v6, v4
	s_wait_loadcnt 0x0
	v_mad_nc_u64_u32 v[2:3], v1, 24, v[8:9]
	s_delay_alu instid0(VALU_DEP_3) | instskip(NEXT) | instid1(VALU_DEP_1)
	v_and_b32_e32 v1, v7, v5
	v_mad_u32 v3, v1, 24, v3
	global_load_b64 v[2:3], v[2:3], off scope:SCOPE_SYS
	s_wait_xcnt 0x0
	s_wait_loadcnt 0x0
	global_atomic_cmpswap_b64 v[2:3], v0, v[2:5], s[2:3] offset:24 th:TH_ATOMIC_RETURN scope:SCOPE_SYS
	s_wait_loadcnt 0x0
	global_inv scope:SCOPE_SYS
	v_cmp_eq_u64_e32 vcc_lo, v[2:3], v[4:5]
	s_or_b32 s5, vcc_lo, s5
	s_wait_xcnt 0x0
	s_and_not1_b32 exec_lo, exec_lo, s5
	s_cbranch_execnz .LBB6_1503
; %bb.1504:
	s_or_b32 exec_lo, exec_lo, s5
.LBB6_1505:
	s_delay_alu instid0(SALU_CYCLE_1)
	s_or_b32 exec_lo, exec_lo, s4
.LBB6_1506:
	s_delay_alu instid0(SALU_CYCLE_1)
	s_or_b32 exec_lo, exec_lo, s1
	v_readfirstlane_b32 s4, v2
	v_mov_b32_e32 v1, 0
	v_readfirstlane_b32 s5, v3
	s_mov_b32 s1, exec_lo
	s_wait_kmcnt 0x0
	s_clause 0x1
	global_load_b64 v[8:9], v1, s[2:3] offset:40
	global_load_b128 v[4:7], v1, s[2:3]
	s_wait_loadcnt 0x1
	v_and_b32_e32 v10, s4, v8
	v_and_b32_e32 v11, s5, v9
	s_delay_alu instid0(VALU_DEP_1) | instskip(SKIP_1) | instid1(VALU_DEP_1)
	v_mul_u64_e32 v[2:3], 24, v[10:11]
	s_wait_loadcnt 0x0
	v_add_nc_u64_e32 v[8:9], v[4:5], v[2:3]
	s_wait_xcnt 0x0
	s_and_saveexec_b32 s6, s0
	s_cbranch_execz .LBB6_1508
; %bb.1507:
	v_mov_b64_e32 v[2:3], 0x100000002
	v_mov_b32_e32 v0, s1
	global_store_b128 v[8:9], v[0:3], off offset:8
.LBB6_1508:
	s_wait_xcnt 0x0
	s_or_b32 exec_lo, exec_lo, s6
	v_lshlrev_b64_e32 v[2:3], 12, v[10:11]
	s_mov_b32 s8, 0
	v_dual_lshlrev_b32 v0, 6, v32 :: v_dual_mov_b32 v10, 33
	s_mov_b32 s10, s8
	s_mov_b32 s11, s8
	;; [unrolled: 1-line block ×3, first 2 shown]
	s_delay_alu instid0(VALU_DEP_2)
	v_add_nc_u64_e32 v[6:7], v[6:7], v[2:3]
	v_mov_b64_e32 v[16:17], s[10:11]
	v_mov_b64_e32 v[14:15], s[8:9]
	v_dual_mov_b32 v11, v1 :: v_dual_mov_b32 v12, v1
	v_mov_b32_e32 v13, v1
	v_readfirstlane_b32 s6, v6
	v_readfirstlane_b32 s7, v7
	s_clause 0x3
	global_store_b128 v0, v[10:13], s[6:7]
	global_store_b128 v0, v[14:17], s[6:7] offset:16
	global_store_b128 v0, v[14:17], s[6:7] offset:32
	;; [unrolled: 1-line block ×3, first 2 shown]
	s_wait_xcnt 0x0
	s_and_saveexec_b32 s1, s0
	s_cbranch_execz .LBB6_1516
; %bb.1509:
	v_dual_mov_b32 v12, 0 :: v_dual_mov_b32 v15, s5
	s_mov_b32 s6, exec_lo
	s_clause 0x1
	global_load_b64 v[16:17], v12, s[2:3] offset:32 scope:SCOPE_SYS
	global_load_b64 v[2:3], v12, s[2:3] offset:40
	s_wait_loadcnt 0x0
	v_dual_mov_b32 v14, s4 :: v_dual_bitop2_b32 v3, s5, v3 bitop3:0x40
	v_and_b32_e32 v2, s4, v2
	s_delay_alu instid0(VALU_DEP_1) | instskip(NEXT) | instid1(VALU_DEP_1)
	v_mul_u64_e32 v[2:3], 24, v[2:3]
	v_add_nc_u64_e32 v[10:11], v[4:5], v[2:3]
	global_store_b64 v[10:11], v[16:17], off
	global_wb scope:SCOPE_SYS
	s_wait_storecnt 0x0
	s_wait_xcnt 0x0
	global_atomic_cmpswap_b64 v[4:5], v12, v[14:17], s[2:3] offset:32 th:TH_ATOMIC_RETURN scope:SCOPE_SYS
	s_wait_loadcnt 0x0
	v_cmpx_ne_u64_e64 v[4:5], v[16:17]
	s_cbranch_execz .LBB6_1512
; %bb.1510:
	s_mov_b32 s7, 0
.LBB6_1511:                             ; =>This Inner Loop Header: Depth=1
	v_dual_mov_b32 v2, s4 :: v_dual_mov_b32 v3, s5
	s_sleep 1
	global_store_b64 v[10:11], v[4:5], off
	global_wb scope:SCOPE_SYS
	s_wait_storecnt 0x0
	s_wait_xcnt 0x0
	global_atomic_cmpswap_b64 v[2:3], v12, v[2:5], s[2:3] offset:32 th:TH_ATOMIC_RETURN scope:SCOPE_SYS
	s_wait_loadcnt 0x0
	v_cmp_eq_u64_e32 vcc_lo, v[2:3], v[4:5]
	v_mov_b64_e32 v[4:5], v[2:3]
	s_or_b32 s7, vcc_lo, s7
	s_delay_alu instid0(SALU_CYCLE_1)
	s_and_not1_b32 exec_lo, exec_lo, s7
	s_cbranch_execnz .LBB6_1511
.LBB6_1512:
	s_or_b32 exec_lo, exec_lo, s6
	v_mov_b32_e32 v5, 0
	s_mov_b32 s7, exec_lo
	s_mov_b32 s6, exec_lo
	v_mbcnt_lo_u32_b32 v4, s7, 0
	global_load_b64 v[2:3], v5, s[2:3] offset:16
	s_wait_xcnt 0x0
	v_cmpx_eq_u32_e32 0, v4
	s_cbranch_execz .LBB6_1514
; %bb.1513:
	s_bcnt1_i32_b32 s7, s7
	s_delay_alu instid0(SALU_CYCLE_1)
	v_mov_b32_e32 v4, s7
	global_wb scope:SCOPE_SYS
	s_wait_loadcnt 0x0
	s_wait_storecnt 0x0
	global_atomic_add_u64 v[2:3], v[4:5], off offset:8 scope:SCOPE_SYS
.LBB6_1514:
	s_wait_xcnt 0x0
	s_or_b32 exec_lo, exec_lo, s6
	s_wait_loadcnt 0x0
	global_load_b64 v[4:5], v[2:3], off offset:16
	s_wait_loadcnt 0x0
	v_cmp_eq_u64_e32 vcc_lo, 0, v[4:5]
	s_cbranch_vccnz .LBB6_1516
; %bb.1515:
	global_load_b32 v2, v[2:3], off offset:24
	s_wait_xcnt 0x0
	v_mov_b32_e32 v3, 0
	s_wait_loadcnt 0x0
	v_readfirstlane_b32 s6, v2
	global_wb scope:SCOPE_SYS
	s_wait_storecnt 0x0
	global_store_b64 v[4:5], v[2:3], off scope:SCOPE_SYS
	s_and_b32 m0, s6, 0xffffff
	s_sendmsg sendmsg(MSG_INTERRUPT)
.LBB6_1516:
	s_wait_xcnt 0x0
	s_or_b32 exec_lo, exec_lo, s1
	v_add_nc_u64_e32 v[2:3], v[6:7], v[0:1]
	s_branch .LBB6_1520
.LBB6_1517:                             ;   in Loop: Header=BB6_1520 Depth=1
	s_wait_xcnt 0x0
	s_or_b32 exec_lo, exec_lo, s1
	s_delay_alu instid0(VALU_DEP_1)
	v_readfirstlane_b32 s1, v1
	s_cmp_eq_u32 s1, 0
	s_cbranch_scc1 .LBB6_1519
; %bb.1518:                             ;   in Loop: Header=BB6_1520 Depth=1
	s_sleep 1
	s_cbranch_execnz .LBB6_1520
	s_branch .LBB6_1522
.LBB6_1519:
	s_branch .LBB6_1522
.LBB6_1520:                             ; =>This Inner Loop Header: Depth=1
	v_mov_b32_e32 v1, 1
	s_and_saveexec_b32 s1, s0
	s_cbranch_execz .LBB6_1517
; %bb.1521:                             ;   in Loop: Header=BB6_1520 Depth=1
	global_load_b32 v1, v[8:9], off offset:20 scope:SCOPE_SYS
	s_wait_loadcnt 0x0
	global_inv scope:SCOPE_SYS
	v_and_b32_e32 v1, 1, v1
	s_branch .LBB6_1517
.LBB6_1522:
	global_load_b64 v[2:3], v[2:3], off
	s_wait_xcnt 0x0
	s_and_saveexec_b32 s6, s0
	s_cbranch_execz .LBB6_1526
; %bb.1523:
	v_mov_b32_e32 v1, 0
	s_clause 0x2
	global_load_b64 v[4:5], v1, s[2:3] offset:40
	global_load_b64 v[12:13], v1, s[2:3] offset:24 scope:SCOPE_SYS
	global_load_b64 v[6:7], v1, s[2:3]
	s_wait_loadcnt 0x2
	v_readfirstlane_b32 s8, v4
	v_readfirstlane_b32 s9, v5
	s_add_nc_u64 s[0:1], s[8:9], 1
	s_delay_alu instid0(SALU_CYCLE_1) | instskip(NEXT) | instid1(SALU_CYCLE_1)
	s_add_nc_u64 s[4:5], s[0:1], s[4:5]
	s_cmp_eq_u64 s[4:5], 0
	s_cselect_b32 s1, s1, s5
	s_cselect_b32 s0, s0, s4
	v_mov_b32_e32 v11, s1
	s_and_b64 s[4:5], s[0:1], s[8:9]
	v_mov_b32_e32 v10, s0
	s_mul_u64 s[4:5], s[4:5], 24
	s_wait_loadcnt 0x0
	v_add_nc_u64_e32 v[8:9], s[4:5], v[6:7]
	global_store_b64 v[8:9], v[12:13], off
	global_wb scope:SCOPE_SYS
	s_wait_storecnt 0x0
	s_wait_xcnt 0x0
	global_atomic_cmpswap_b64 v[6:7], v1, v[10:13], s[2:3] offset:24 th:TH_ATOMIC_RETURN scope:SCOPE_SYS
	s_wait_loadcnt 0x0
	v_cmp_ne_u64_e32 vcc_lo, v[6:7], v[12:13]
	s_and_b32 exec_lo, exec_lo, vcc_lo
	s_cbranch_execz .LBB6_1526
; %bb.1524:
	s_mov_b32 s4, 0
.LBB6_1525:                             ; =>This Inner Loop Header: Depth=1
	v_dual_mov_b32 v4, s0 :: v_dual_mov_b32 v5, s1
	s_sleep 1
	global_store_b64 v[8:9], v[6:7], off
	global_wb scope:SCOPE_SYS
	s_wait_storecnt 0x0
	s_wait_xcnt 0x0
	global_atomic_cmpswap_b64 v[4:5], v1, v[4:7], s[2:3] offset:24 th:TH_ATOMIC_RETURN scope:SCOPE_SYS
	s_wait_loadcnt 0x0
	v_cmp_eq_u64_e32 vcc_lo, v[4:5], v[6:7]
	v_mov_b64_e32 v[6:7], v[4:5]
	s_or_b32 s4, vcc_lo, s4
	s_delay_alu instid0(SALU_CYCLE_1)
	s_and_not1_b32 exec_lo, exec_lo, s4
	s_cbranch_execnz .LBB6_1525
.LBB6_1526:
	s_or_b32 exec_lo, exec_lo, s6
	s_get_pc_i64 s[4:5]
	s_add_nc_u64 s[4:5], s[4:5], .str.28@rel64+4
	s_delay_alu instid0(SALU_CYCLE_1)
	s_cmp_lg_u64 s[4:5], 0
	s_cbranch_scc0 .LBB6_1612
; %bb.1527:
	v_mov_b64_e32 v[6:7], 0x100000002
	s_wait_loadcnt 0x0
	v_dual_mov_b32 v9, v3 :: v_dual_bitop2_b32 v8, -3, v2 bitop3:0x40
	v_mov_b32_e32 v5, 0
	s_mov_b64 s[6:7], 35
	s_branch .LBB6_1529
.LBB6_1528:                             ;   in Loop: Header=BB6_1529 Depth=1
	s_or_b32 exec_lo, exec_lo, s12
	s_sub_nc_u64 s[6:7], s[6:7], s[8:9]
	s_add_nc_u64 s[4:5], s[4:5], s[8:9]
	s_cmp_lg_u64 s[6:7], 0
	s_cbranch_scc0 .LBB6_1611
.LBB6_1529:                             ; =>This Loop Header: Depth=1
                                        ;     Child Loop BB6_1532 Depth 2
                                        ;     Child Loop BB6_1540 Depth 2
	;; [unrolled: 1-line block ×11, first 2 shown]
	s_wait_loadcnt 0x0
	v_min_u64 v[10:11], s[6:7], 56
	v_cmp_gt_u64_e64 s0, s[6:7], 7
	s_and_b32 vcc_lo, exec_lo, s0
	v_readfirstlane_b32 s8, v10
	v_readfirstlane_b32 s9, v11
	s_cbranch_vccnz .LBB6_1534
; %bb.1530:                             ;   in Loop: Header=BB6_1529 Depth=1
	v_mov_b64_e32 v[10:11], 0
	s_cmp_eq_u64 s[6:7], 0
	s_cbranch_scc1 .LBB6_1533
; %bb.1531:                             ;   in Loop: Header=BB6_1529 Depth=1
	s_mov_b64 s[0:1], 0
	s_mov_b64 s[10:11], 0
.LBB6_1532:                             ;   Parent Loop BB6_1529 Depth=1
                                        ; =>  This Inner Loop Header: Depth=2
	s_wait_xcnt 0x0
	s_add_nc_u64 s[12:13], s[4:5], s[10:11]
	s_add_nc_u64 s[10:11], s[10:11], 1
	global_load_u8 v1, v5, s[12:13]
	s_cmp_lg_u32 s8, s10
	s_wait_loadcnt 0x0
	v_and_b32_e32 v4, 0xffff, v1
	s_delay_alu instid0(VALU_DEP_1) | instskip(SKIP_1) | instid1(VALU_DEP_1)
	v_lshlrev_b64_e32 v[12:13], s0, v[4:5]
	s_add_nc_u64 s[0:1], s[0:1], 8
	v_or_b32_e32 v10, v12, v10
	s_delay_alu instid0(VALU_DEP_2)
	v_or_b32_e32 v11, v13, v11
	s_cbranch_scc1 .LBB6_1532
.LBB6_1533:                             ;   in Loop: Header=BB6_1529 Depth=1
	s_mov_b32 s0, 0
	s_mov_b64 s[10:11], s[4:5]
	s_branch .LBB6_1535
.LBB6_1534:                             ;   in Loop: Header=BB6_1529 Depth=1
	s_add_nc_u64 s[10:11], s[4:5], 8
	s_mov_b32 s0, -1
.LBB6_1535:                             ;   in Loop: Header=BB6_1529 Depth=1
	s_delay_alu instid0(SALU_CYCLE_1)
	s_and_not1_b32 vcc_lo, exec_lo, s0
	s_mov_b32 s14, 0
	s_cbranch_vccnz .LBB6_1537
; %bb.1536:                             ;   in Loop: Header=BB6_1529 Depth=1
	global_load_b64 v[10:11], v5, s[4:5]
	s_add_co_i32 s14, s8, -8
.LBB6_1537:                             ;   in Loop: Header=BB6_1529 Depth=1
	s_delay_alu instid0(SALU_CYCLE_1)
	s_cmp_gt_u32 s14, 7
	s_cbranch_scc1 .LBB6_1542
; %bb.1538:                             ;   in Loop: Header=BB6_1529 Depth=1
	v_mov_b64_e32 v[12:13], 0
	s_cmp_eq_u32 s14, 0
	s_cbranch_scc1 .LBB6_1541
; %bb.1539:                             ;   in Loop: Header=BB6_1529 Depth=1
	s_mov_b64 s[0:1], 0
	s_wait_xcnt 0x0
	s_mov_b64 s[12:13], 0
.LBB6_1540:                             ;   Parent Loop BB6_1529 Depth=1
                                        ; =>  This Inner Loop Header: Depth=2
	s_wait_xcnt 0x0
	s_add_nc_u64 s[20:21], s[10:11], s[12:13]
	s_add_nc_u64 s[12:13], s[12:13], 1
	global_load_u8 v1, v5, s[20:21]
	s_cmp_lg_u32 s14, s12
	s_wait_loadcnt 0x0
	v_and_b32_e32 v4, 0xffff, v1
	s_delay_alu instid0(VALU_DEP_1) | instskip(SKIP_1) | instid1(VALU_DEP_1)
	v_lshlrev_b64_e32 v[14:15], s0, v[4:5]
	s_add_nc_u64 s[0:1], s[0:1], 8
	v_or_b32_e32 v12, v14, v12
	s_delay_alu instid0(VALU_DEP_2)
	v_or_b32_e32 v13, v15, v13
	s_cbranch_scc1 .LBB6_1540
.LBB6_1541:                             ;   in Loop: Header=BB6_1529 Depth=1
	s_wait_xcnt 0x0
	s_mov_b32 s12, 0
	s_mov_b64 s[0:1], s[10:11]
	s_branch .LBB6_1543
.LBB6_1542:                             ;   in Loop: Header=BB6_1529 Depth=1
	s_add_nc_u64 s[0:1], s[10:11], 8
	s_wait_xcnt 0x0
	s_mov_b32 s12, -1
                                        ; implicit-def: $vgpr12_vgpr13
.LBB6_1543:                             ;   in Loop: Header=BB6_1529 Depth=1
	s_delay_alu instid0(SALU_CYCLE_1)
	s_and_not1_b32 vcc_lo, exec_lo, s12
	s_mov_b32 s15, 0
	s_cbranch_vccnz .LBB6_1545
; %bb.1544:                             ;   in Loop: Header=BB6_1529 Depth=1
	global_load_b64 v[12:13], v5, s[10:11]
	s_add_co_i32 s15, s14, -8
.LBB6_1545:                             ;   in Loop: Header=BB6_1529 Depth=1
	s_delay_alu instid0(SALU_CYCLE_1)
	s_cmp_gt_u32 s15, 7
	s_cbranch_scc1 .LBB6_1550
; %bb.1546:                             ;   in Loop: Header=BB6_1529 Depth=1
	v_mov_b64_e32 v[14:15], 0
	s_cmp_eq_u32 s15, 0
	s_cbranch_scc1 .LBB6_1549
; %bb.1547:                             ;   in Loop: Header=BB6_1529 Depth=1
	s_wait_xcnt 0x0
	s_mov_b64 s[10:11], 0
	s_mov_b64 s[12:13], 0
.LBB6_1548:                             ;   Parent Loop BB6_1529 Depth=1
                                        ; =>  This Inner Loop Header: Depth=2
	s_wait_xcnt 0x0
	s_add_nc_u64 s[20:21], s[0:1], s[12:13]
	s_add_nc_u64 s[12:13], s[12:13], 1
	global_load_u8 v1, v5, s[20:21]
	s_cmp_lg_u32 s15, s12
	s_wait_loadcnt 0x0
	v_and_b32_e32 v4, 0xffff, v1
	s_delay_alu instid0(VALU_DEP_1) | instskip(SKIP_1) | instid1(VALU_DEP_1)
	v_lshlrev_b64_e32 v[16:17], s10, v[4:5]
	s_add_nc_u64 s[10:11], s[10:11], 8
	v_or_b32_e32 v14, v16, v14
	s_delay_alu instid0(VALU_DEP_2)
	v_or_b32_e32 v15, v17, v15
	s_cbranch_scc1 .LBB6_1548
.LBB6_1549:                             ;   in Loop: Header=BB6_1529 Depth=1
	s_mov_b32 s12, 0
	s_wait_xcnt 0x0
	s_mov_b64 s[10:11], s[0:1]
	s_branch .LBB6_1551
.LBB6_1550:                             ;   in Loop: Header=BB6_1529 Depth=1
	s_wait_xcnt 0x0
	s_add_nc_u64 s[10:11], s[0:1], 8
	s_mov_b32 s12, -1
.LBB6_1551:                             ;   in Loop: Header=BB6_1529 Depth=1
	s_delay_alu instid0(SALU_CYCLE_1)
	s_and_not1_b32 vcc_lo, exec_lo, s12
	s_mov_b32 s14, 0
	s_cbranch_vccnz .LBB6_1553
; %bb.1552:                             ;   in Loop: Header=BB6_1529 Depth=1
	global_load_b64 v[14:15], v5, s[0:1]
	s_add_co_i32 s14, s15, -8
.LBB6_1553:                             ;   in Loop: Header=BB6_1529 Depth=1
	s_delay_alu instid0(SALU_CYCLE_1)
	s_cmp_gt_u32 s14, 7
	s_cbranch_scc1 .LBB6_1558
; %bb.1554:                             ;   in Loop: Header=BB6_1529 Depth=1
	v_mov_b64_e32 v[16:17], 0
	s_cmp_eq_u32 s14, 0
	s_cbranch_scc1 .LBB6_1557
; %bb.1555:                             ;   in Loop: Header=BB6_1529 Depth=1
	s_wait_xcnt 0x0
	s_mov_b64 s[0:1], 0
	s_mov_b64 s[12:13], 0
.LBB6_1556:                             ;   Parent Loop BB6_1529 Depth=1
                                        ; =>  This Inner Loop Header: Depth=2
	s_wait_xcnt 0x0
	s_add_nc_u64 s[20:21], s[10:11], s[12:13]
	s_add_nc_u64 s[12:13], s[12:13], 1
	global_load_u8 v1, v5, s[20:21]
	s_cmp_lg_u32 s14, s12
	s_wait_loadcnt 0x0
	v_and_b32_e32 v4, 0xffff, v1
	s_delay_alu instid0(VALU_DEP_1) | instskip(SKIP_1) | instid1(VALU_DEP_1)
	v_lshlrev_b64_e32 v[18:19], s0, v[4:5]
	s_add_nc_u64 s[0:1], s[0:1], 8
	v_or_b32_e32 v16, v18, v16
	s_delay_alu instid0(VALU_DEP_2)
	v_or_b32_e32 v17, v19, v17
	s_cbranch_scc1 .LBB6_1556
.LBB6_1557:                             ;   in Loop: Header=BB6_1529 Depth=1
	s_mov_b32 s12, 0
	s_wait_xcnt 0x0
	s_mov_b64 s[0:1], s[10:11]
	s_branch .LBB6_1559
.LBB6_1558:                             ;   in Loop: Header=BB6_1529 Depth=1
	s_wait_xcnt 0x0
	s_add_nc_u64 s[0:1], s[10:11], 8
	s_mov_b32 s12, -1
                                        ; implicit-def: $vgpr16_vgpr17
.LBB6_1559:                             ;   in Loop: Header=BB6_1529 Depth=1
	s_delay_alu instid0(SALU_CYCLE_1)
	s_and_not1_b32 vcc_lo, exec_lo, s12
	s_mov_b32 s15, 0
	s_cbranch_vccnz .LBB6_1561
; %bb.1560:                             ;   in Loop: Header=BB6_1529 Depth=1
	global_load_b64 v[16:17], v5, s[10:11]
	s_add_co_i32 s15, s14, -8
.LBB6_1561:                             ;   in Loop: Header=BB6_1529 Depth=1
	s_delay_alu instid0(SALU_CYCLE_1)
	s_cmp_gt_u32 s15, 7
	s_cbranch_scc1 .LBB6_1566
; %bb.1562:                             ;   in Loop: Header=BB6_1529 Depth=1
	v_mov_b64_e32 v[18:19], 0
	s_cmp_eq_u32 s15, 0
	s_cbranch_scc1 .LBB6_1565
; %bb.1563:                             ;   in Loop: Header=BB6_1529 Depth=1
	s_wait_xcnt 0x0
	s_mov_b64 s[10:11], 0
	s_mov_b64 s[12:13], 0
.LBB6_1564:                             ;   Parent Loop BB6_1529 Depth=1
                                        ; =>  This Inner Loop Header: Depth=2
	s_wait_xcnt 0x0
	s_add_nc_u64 s[20:21], s[0:1], s[12:13]
	s_add_nc_u64 s[12:13], s[12:13], 1
	global_load_u8 v1, v5, s[20:21]
	s_cmp_lg_u32 s15, s12
	s_wait_loadcnt 0x0
	v_and_b32_e32 v4, 0xffff, v1
	s_delay_alu instid0(VALU_DEP_1) | instskip(SKIP_1) | instid1(VALU_DEP_1)
	v_lshlrev_b64_e32 v[20:21], s10, v[4:5]
	s_add_nc_u64 s[10:11], s[10:11], 8
	v_or_b32_e32 v18, v20, v18
	s_delay_alu instid0(VALU_DEP_2)
	v_or_b32_e32 v19, v21, v19
	s_cbranch_scc1 .LBB6_1564
.LBB6_1565:                             ;   in Loop: Header=BB6_1529 Depth=1
	s_mov_b32 s12, 0
	s_wait_xcnt 0x0
	s_mov_b64 s[10:11], s[0:1]
	s_branch .LBB6_1567
.LBB6_1566:                             ;   in Loop: Header=BB6_1529 Depth=1
	s_wait_xcnt 0x0
	s_add_nc_u64 s[10:11], s[0:1], 8
	s_mov_b32 s12, -1
.LBB6_1567:                             ;   in Loop: Header=BB6_1529 Depth=1
	s_delay_alu instid0(SALU_CYCLE_1)
	s_and_not1_b32 vcc_lo, exec_lo, s12
	s_mov_b32 s14, 0
	s_cbranch_vccnz .LBB6_1569
; %bb.1568:                             ;   in Loop: Header=BB6_1529 Depth=1
	global_load_b64 v[18:19], v5, s[0:1]
	s_add_co_i32 s14, s15, -8
.LBB6_1569:                             ;   in Loop: Header=BB6_1529 Depth=1
	s_delay_alu instid0(SALU_CYCLE_1)
	s_cmp_gt_u32 s14, 7
	s_cbranch_scc1 .LBB6_1574
; %bb.1570:                             ;   in Loop: Header=BB6_1529 Depth=1
	v_mov_b64_e32 v[20:21], 0
	s_cmp_eq_u32 s14, 0
	s_cbranch_scc1 .LBB6_1573
; %bb.1571:                             ;   in Loop: Header=BB6_1529 Depth=1
	s_wait_xcnt 0x0
	s_mov_b64 s[0:1], 0
	s_mov_b64 s[12:13], 0
.LBB6_1572:                             ;   Parent Loop BB6_1529 Depth=1
                                        ; =>  This Inner Loop Header: Depth=2
	s_wait_xcnt 0x0
	s_add_nc_u64 s[20:21], s[10:11], s[12:13]
	s_add_nc_u64 s[12:13], s[12:13], 1
	global_load_u8 v1, v5, s[20:21]
	s_cmp_lg_u32 s14, s12
	s_wait_loadcnt 0x0
	v_and_b32_e32 v4, 0xffff, v1
	s_delay_alu instid0(VALU_DEP_1) | instskip(SKIP_1) | instid1(VALU_DEP_1)
	v_lshlrev_b64_e32 v[22:23], s0, v[4:5]
	s_add_nc_u64 s[0:1], s[0:1], 8
	v_or_b32_e32 v20, v22, v20
	s_delay_alu instid0(VALU_DEP_2)
	v_or_b32_e32 v21, v23, v21
	s_cbranch_scc1 .LBB6_1572
.LBB6_1573:                             ;   in Loop: Header=BB6_1529 Depth=1
	s_mov_b32 s12, 0
	s_wait_xcnt 0x0
	s_mov_b64 s[0:1], s[10:11]
	s_branch .LBB6_1575
.LBB6_1574:                             ;   in Loop: Header=BB6_1529 Depth=1
	s_wait_xcnt 0x0
	s_add_nc_u64 s[0:1], s[10:11], 8
	s_mov_b32 s12, -1
                                        ; implicit-def: $vgpr20_vgpr21
.LBB6_1575:                             ;   in Loop: Header=BB6_1529 Depth=1
	s_delay_alu instid0(SALU_CYCLE_1)
	s_and_not1_b32 vcc_lo, exec_lo, s12
	s_mov_b32 s15, 0
	s_cbranch_vccnz .LBB6_1577
; %bb.1576:                             ;   in Loop: Header=BB6_1529 Depth=1
	global_load_b64 v[20:21], v5, s[10:11]
	s_add_co_i32 s15, s14, -8
.LBB6_1577:                             ;   in Loop: Header=BB6_1529 Depth=1
	s_delay_alu instid0(SALU_CYCLE_1)
	s_cmp_gt_u32 s15, 7
	s_cbranch_scc1 .LBB6_1582
; %bb.1578:                             ;   in Loop: Header=BB6_1529 Depth=1
	v_mov_b64_e32 v[22:23], 0
	s_cmp_eq_u32 s15, 0
	s_cbranch_scc1 .LBB6_1581
; %bb.1579:                             ;   in Loop: Header=BB6_1529 Depth=1
	s_wait_xcnt 0x0
	s_mov_b64 s[10:11], 0
	s_mov_b64 s[12:13], s[0:1]
.LBB6_1580:                             ;   Parent Loop BB6_1529 Depth=1
                                        ; =>  This Inner Loop Header: Depth=2
	global_load_u8 v1, v5, s[12:13]
	s_add_co_i32 s15, s15, -1
	s_wait_xcnt 0x0
	s_add_nc_u64 s[12:13], s[12:13], 1
	s_cmp_lg_u32 s15, 0
	s_wait_loadcnt 0x0
	v_and_b32_e32 v4, 0xffff, v1
	s_delay_alu instid0(VALU_DEP_1) | instskip(SKIP_1) | instid1(VALU_DEP_1)
	v_lshlrev_b64_e32 v[24:25], s10, v[4:5]
	s_add_nc_u64 s[10:11], s[10:11], 8
	v_or_b32_e32 v22, v24, v22
	s_delay_alu instid0(VALU_DEP_2)
	v_or_b32_e32 v23, v25, v23
	s_cbranch_scc1 .LBB6_1580
.LBB6_1581:                             ;   in Loop: Header=BB6_1529 Depth=1
	s_wait_xcnt 0x0
	s_mov_b32 s10, 0
	s_branch .LBB6_1583
.LBB6_1582:                             ;   in Loop: Header=BB6_1529 Depth=1
	s_wait_xcnt 0x0
	s_mov_b32 s10, -1
.LBB6_1583:                             ;   in Loop: Header=BB6_1529 Depth=1
	s_delay_alu instid0(SALU_CYCLE_1)
	s_and_not1_b32 vcc_lo, exec_lo, s10
	s_cbranch_vccnz .LBB6_1585
; %bb.1584:                             ;   in Loop: Header=BB6_1529 Depth=1
	global_load_b64 v[22:23], v5, s[0:1]
.LBB6_1585:                             ;   in Loop: Header=BB6_1529 Depth=1
	s_wait_xcnt 0x0
	v_readfirstlane_b32 s0, v32
	v_mov_b64_e32 v[28:29], 0
	s_delay_alu instid0(VALU_DEP_2)
	v_cmp_eq_u32_e64 s0, s0, v32
	s_and_saveexec_b32 s1, s0
	s_cbranch_execz .LBB6_1591
; %bb.1586:                             ;   in Loop: Header=BB6_1529 Depth=1
	global_load_b64 v[26:27], v5, s[2:3] offset:24 scope:SCOPE_SYS
	s_wait_loadcnt 0x0
	global_inv scope:SCOPE_SYS
	s_clause 0x1
	global_load_b64 v[24:25], v5, s[2:3] offset:40
	global_load_b64 v[28:29], v5, s[2:3]
	s_mov_b32 s10, exec_lo
	s_wait_loadcnt 0x1
	v_and_b32_e32 v24, v24, v26
	v_and_b32_e32 v25, v25, v27
	s_delay_alu instid0(VALU_DEP_1) | instskip(SKIP_1) | instid1(VALU_DEP_1)
	v_mul_u64_e32 v[24:25], 24, v[24:25]
	s_wait_loadcnt 0x0
	v_add_nc_u64_e32 v[24:25], v[28:29], v[24:25]
	global_load_b64 v[24:25], v[24:25], off scope:SCOPE_SYS
	s_wait_xcnt 0x0
	s_wait_loadcnt 0x0
	global_atomic_cmpswap_b64 v[28:29], v5, v[24:27], s[2:3] offset:24 th:TH_ATOMIC_RETURN scope:SCOPE_SYS
	s_wait_loadcnt 0x0
	global_inv scope:SCOPE_SYS
	s_wait_xcnt 0x0
	v_cmpx_ne_u64_e64 v[28:29], v[26:27]
	s_cbranch_execz .LBB6_1590
; %bb.1587:                             ;   in Loop: Header=BB6_1529 Depth=1
	s_mov_b32 s11, 0
.LBB6_1588:                             ;   Parent Loop BB6_1529 Depth=1
                                        ; =>  This Inner Loop Header: Depth=2
	s_sleep 1
	s_clause 0x1
	global_load_b64 v[24:25], v5, s[2:3] offset:40
	global_load_b64 v[30:31], v5, s[2:3]
	v_mov_b64_e32 v[26:27], v[28:29]
	s_wait_loadcnt 0x1
	s_delay_alu instid0(VALU_DEP_1) | instskip(SKIP_1) | instid1(VALU_DEP_1)
	v_and_b32_e32 v1, v24, v26
	s_wait_loadcnt 0x0
	v_mad_nc_u64_u32 v[28:29], v1, 24, v[30:31]
	s_delay_alu instid0(VALU_DEP_3) | instskip(NEXT) | instid1(VALU_DEP_1)
	v_and_b32_e32 v1, v25, v27
	v_mad_u32 v29, v1, 24, v29
	global_load_b64 v[24:25], v[28:29], off scope:SCOPE_SYS
	s_wait_xcnt 0x0
	s_wait_loadcnt 0x0
	global_atomic_cmpswap_b64 v[28:29], v5, v[24:27], s[2:3] offset:24 th:TH_ATOMIC_RETURN scope:SCOPE_SYS
	s_wait_loadcnt 0x0
	global_inv scope:SCOPE_SYS
	v_cmp_eq_u64_e32 vcc_lo, v[28:29], v[26:27]
	s_or_b32 s11, vcc_lo, s11
	s_wait_xcnt 0x0
	s_and_not1_b32 exec_lo, exec_lo, s11
	s_cbranch_execnz .LBB6_1588
; %bb.1589:                             ;   in Loop: Header=BB6_1529 Depth=1
	s_or_b32 exec_lo, exec_lo, s11
.LBB6_1590:                             ;   in Loop: Header=BB6_1529 Depth=1
	s_delay_alu instid0(SALU_CYCLE_1)
	s_or_b32 exec_lo, exec_lo, s10
.LBB6_1591:                             ;   in Loop: Header=BB6_1529 Depth=1
	s_delay_alu instid0(SALU_CYCLE_1)
	s_or_b32 exec_lo, exec_lo, s1
	s_clause 0x1
	global_load_b64 v[30:31], v5, s[2:3] offset:40
	global_load_b128 v[24:27], v5, s[2:3]
	v_readfirstlane_b32 s10, v28
	v_readfirstlane_b32 s11, v29
	s_mov_b32 s1, exec_lo
	s_wait_loadcnt 0x1
	v_and_b32_e32 v30, s10, v30
	v_and_b32_e32 v31, s11, v31
	s_delay_alu instid0(VALU_DEP_1) | instskip(SKIP_1) | instid1(VALU_DEP_1)
	v_mul_u64_e32 v[28:29], 24, v[30:31]
	s_wait_loadcnt 0x0
	v_add_nc_u64_e32 v[28:29], v[24:25], v[28:29]
	s_wait_xcnt 0x0
	s_and_saveexec_b32 s12, s0
	s_cbranch_execz .LBB6_1593
; %bb.1592:                             ;   in Loop: Header=BB6_1529 Depth=1
	v_mov_b32_e32 v4, s1
	global_store_b128 v[28:29], v[4:7], off offset:8
.LBB6_1593:                             ;   in Loop: Header=BB6_1529 Depth=1
	s_wait_xcnt 0x0
	s_or_b32 exec_lo, exec_lo, s12
	v_cmp_gt_u64_e64 s1, s[6:7], 56
	v_lshlrev_b64_e32 v[30:31], 12, v[30:31]
	v_and_b32_e32 v1, 0xffffff1f, v8
	s_and_b32 s1, s1, exec_lo
	s_delay_alu instid0(VALU_DEP_2) | instskip(SKIP_4) | instid1(VALU_DEP_2)
	v_add_nc_u64_e32 v[26:27], v[26:27], v[30:31]
	s_cselect_b32 s1, 0, 2
	s_lshl_b32 s12, s8, 2
	v_or_b32_e32 v1, s1, v1
	s_add_co_i32 s1, s12, 28
	v_readfirstlane_b32 s12, v26
	s_delay_alu instid0(VALU_DEP_3) | instskip(NEXT) | instid1(VALU_DEP_3)
	v_readfirstlane_b32 s13, v27
	v_and_or_b32 v8, 0x1e0, s1, v1
	s_clause 0x3
	global_store_b128 v0, v[8:11], s[12:13]
	global_store_b128 v0, v[12:15], s[12:13] offset:16
	global_store_b128 v0, v[16:19], s[12:13] offset:32
	;; [unrolled: 1-line block ×3, first 2 shown]
	s_wait_xcnt 0x0
	s_and_saveexec_b32 s1, s0
	s_cbranch_execz .LBB6_1601
; %bb.1594:                             ;   in Loop: Header=BB6_1529 Depth=1
	s_clause 0x1
	global_load_b64 v[16:17], v5, s[2:3] offset:32 scope:SCOPE_SYS
	global_load_b64 v[8:9], v5, s[2:3] offset:40
	s_mov_b32 s12, exec_lo
	v_dual_mov_b32 v14, s10 :: v_dual_mov_b32 v15, s11
	s_wait_loadcnt 0x0
	v_and_b32_e32 v9, s11, v9
	v_and_b32_e32 v8, s10, v8
	s_delay_alu instid0(VALU_DEP_1) | instskip(NEXT) | instid1(VALU_DEP_1)
	v_mul_u64_e32 v[8:9], 24, v[8:9]
	v_add_nc_u64_e32 v[12:13], v[24:25], v[8:9]
	global_store_b64 v[12:13], v[16:17], off
	global_wb scope:SCOPE_SYS
	s_wait_storecnt 0x0
	s_wait_xcnt 0x0
	global_atomic_cmpswap_b64 v[10:11], v5, v[14:17], s[2:3] offset:32 th:TH_ATOMIC_RETURN scope:SCOPE_SYS
	s_wait_loadcnt 0x0
	v_cmpx_ne_u64_e64 v[10:11], v[16:17]
	s_cbranch_execz .LBB6_1597
; %bb.1595:                             ;   in Loop: Header=BB6_1529 Depth=1
	s_mov_b32 s13, 0
.LBB6_1596:                             ;   Parent Loop BB6_1529 Depth=1
                                        ; =>  This Inner Loop Header: Depth=2
	v_dual_mov_b32 v8, s10 :: v_dual_mov_b32 v9, s11
	s_sleep 1
	global_store_b64 v[12:13], v[10:11], off
	global_wb scope:SCOPE_SYS
	s_wait_storecnt 0x0
	s_wait_xcnt 0x0
	global_atomic_cmpswap_b64 v[8:9], v5, v[8:11], s[2:3] offset:32 th:TH_ATOMIC_RETURN scope:SCOPE_SYS
	s_wait_loadcnt 0x0
	v_cmp_eq_u64_e32 vcc_lo, v[8:9], v[10:11]
	v_mov_b64_e32 v[10:11], v[8:9]
	s_or_b32 s13, vcc_lo, s13
	s_delay_alu instid0(SALU_CYCLE_1)
	s_and_not1_b32 exec_lo, exec_lo, s13
	s_cbranch_execnz .LBB6_1596
.LBB6_1597:                             ;   in Loop: Header=BB6_1529 Depth=1
	s_or_b32 exec_lo, exec_lo, s12
	global_load_b64 v[8:9], v5, s[2:3] offset:16
	s_mov_b32 s13, exec_lo
	s_mov_b32 s12, exec_lo
	v_mbcnt_lo_u32_b32 v1, s13, 0
	s_wait_xcnt 0x0
	s_delay_alu instid0(VALU_DEP_1)
	v_cmpx_eq_u32_e32 0, v1
	s_cbranch_execz .LBB6_1599
; %bb.1598:                             ;   in Loop: Header=BB6_1529 Depth=1
	s_bcnt1_i32_b32 s13, s13
	s_delay_alu instid0(SALU_CYCLE_1)
	v_mov_b32_e32 v4, s13
	global_wb scope:SCOPE_SYS
	s_wait_loadcnt 0x0
	s_wait_storecnt 0x0
	global_atomic_add_u64 v[8:9], v[4:5], off offset:8 scope:SCOPE_SYS
.LBB6_1599:                             ;   in Loop: Header=BB6_1529 Depth=1
	s_wait_xcnt 0x0
	s_or_b32 exec_lo, exec_lo, s12
	s_wait_loadcnt 0x0
	global_load_b64 v[10:11], v[8:9], off offset:16
	s_wait_loadcnt 0x0
	v_cmp_eq_u64_e32 vcc_lo, 0, v[10:11]
	s_cbranch_vccnz .LBB6_1601
; %bb.1600:                             ;   in Loop: Header=BB6_1529 Depth=1
	global_load_b32 v4, v[8:9], off offset:24
	s_wait_loadcnt 0x0
	v_readfirstlane_b32 s12, v4
	global_wb scope:SCOPE_SYS
	s_wait_storecnt 0x0
	s_wait_xcnt 0x0
	global_store_b64 v[10:11], v[4:5], off scope:SCOPE_SYS
	s_and_b32 m0, s12, 0xffffff
	s_sendmsg sendmsg(MSG_INTERRUPT)
.LBB6_1601:                             ;   in Loop: Header=BB6_1529 Depth=1
	s_wait_xcnt 0x0
	s_or_b32 exec_lo, exec_lo, s1
	v_mov_b32_e32 v1, v5
	s_delay_alu instid0(VALU_DEP_1)
	v_add_nc_u64_e32 v[8:9], v[26:27], v[0:1]
	s_branch .LBB6_1605
.LBB6_1602:                             ;   in Loop: Header=BB6_1605 Depth=2
	s_wait_xcnt 0x0
	s_or_b32 exec_lo, exec_lo, s1
	s_delay_alu instid0(VALU_DEP_1)
	v_readfirstlane_b32 s1, v1
	s_cmp_eq_u32 s1, 0
	s_cbranch_scc1 .LBB6_1604
; %bb.1603:                             ;   in Loop: Header=BB6_1605 Depth=2
	s_sleep 1
	s_cbranch_execnz .LBB6_1605
	s_branch .LBB6_1607
.LBB6_1604:                             ;   in Loop: Header=BB6_1529 Depth=1
	s_branch .LBB6_1607
.LBB6_1605:                             ;   Parent Loop BB6_1529 Depth=1
                                        ; =>  This Inner Loop Header: Depth=2
	v_mov_b32_e32 v1, 1
	s_and_saveexec_b32 s1, s0
	s_cbranch_execz .LBB6_1602
; %bb.1606:                             ;   in Loop: Header=BB6_1605 Depth=2
	global_load_b32 v1, v[28:29], off offset:20 scope:SCOPE_SYS
	s_wait_loadcnt 0x0
	global_inv scope:SCOPE_SYS
	v_and_b32_e32 v1, 1, v1
	s_branch .LBB6_1602
.LBB6_1607:                             ;   in Loop: Header=BB6_1529 Depth=1
	global_load_b128 v[8:11], v[8:9], off
	s_wait_xcnt 0x0
	s_and_saveexec_b32 s12, s0
	s_cbranch_execz .LBB6_1528
; %bb.1608:                             ;   in Loop: Header=BB6_1529 Depth=1
	s_wait_loadcnt 0x0
	s_clause 0x2
	global_load_b64 v[10:11], v5, s[2:3] offset:40
	global_load_b64 v[18:19], v5, s[2:3] offset:24 scope:SCOPE_SYS
	global_load_b64 v[12:13], v5, s[2:3]
	s_wait_loadcnt 0x2
	v_readfirstlane_b32 s14, v10
	v_readfirstlane_b32 s15, v11
	s_add_nc_u64 s[0:1], s[14:15], 1
	s_delay_alu instid0(SALU_CYCLE_1) | instskip(NEXT) | instid1(SALU_CYCLE_1)
	s_add_nc_u64 s[10:11], s[0:1], s[10:11]
	s_cmp_eq_u64 s[10:11], 0
	s_cselect_b32 s1, s1, s11
	s_cselect_b32 s0, s0, s10
	s_delay_alu instid0(SALU_CYCLE_1) | instskip(SKIP_1) | instid1(SALU_CYCLE_1)
	v_dual_mov_b32 v17, s1 :: v_dual_mov_b32 v16, s0
	s_and_b64 s[10:11], s[0:1], s[14:15]
	s_mul_u64 s[10:11], s[10:11], 24
	s_wait_loadcnt 0x0
	v_add_nc_u64_e32 v[14:15], s[10:11], v[12:13]
	global_store_b64 v[14:15], v[18:19], off
	global_wb scope:SCOPE_SYS
	s_wait_storecnt 0x0
	s_wait_xcnt 0x0
	global_atomic_cmpswap_b64 v[12:13], v5, v[16:19], s[2:3] offset:24 th:TH_ATOMIC_RETURN scope:SCOPE_SYS
	s_wait_loadcnt 0x0
	v_cmp_ne_u64_e32 vcc_lo, v[12:13], v[18:19]
	s_and_b32 exec_lo, exec_lo, vcc_lo
	s_cbranch_execz .LBB6_1528
; %bb.1609:                             ;   in Loop: Header=BB6_1529 Depth=1
	s_mov_b32 s10, 0
.LBB6_1610:                             ;   Parent Loop BB6_1529 Depth=1
                                        ; =>  This Inner Loop Header: Depth=2
	v_dual_mov_b32 v10, s0 :: v_dual_mov_b32 v11, s1
	s_sleep 1
	global_store_b64 v[14:15], v[12:13], off
	global_wb scope:SCOPE_SYS
	s_wait_storecnt 0x0
	s_wait_xcnt 0x0
	global_atomic_cmpswap_b64 v[10:11], v5, v[10:13], s[2:3] offset:24 th:TH_ATOMIC_RETURN scope:SCOPE_SYS
	s_wait_loadcnt 0x0
	v_cmp_eq_u64_e32 vcc_lo, v[10:11], v[12:13]
	v_mov_b64_e32 v[12:13], v[10:11]
	s_or_b32 s10, vcc_lo, s10
	s_delay_alu instid0(SALU_CYCLE_1)
	s_and_not1_b32 exec_lo, exec_lo, s10
	s_cbranch_execnz .LBB6_1610
	s_branch .LBB6_1528
.LBB6_1611:
	s_mov_b32 s0, 0
	s_branch .LBB6_1613
.LBB6_1612:
	s_mov_b32 s0, -1
.LBB6_1613:
	s_delay_alu instid0(SALU_CYCLE_1)
	s_and_b32 vcc_lo, exec_lo, s0
	s_cbranch_vccz .LBB6_1641
; %bb.1614:
	v_readfirstlane_b32 s0, v32
	s_wait_loadcnt 0x0
	v_mov_b64_e32 v[10:11], 0
	s_delay_alu instid0(VALU_DEP_2)
	v_cmp_eq_u32_e64 s0, s0, v32
	s_and_saveexec_b32 s1, s0
	s_cbranch_execz .LBB6_1620
; %bb.1615:
	v_mov_b32_e32 v1, 0
	s_mov_b32 s4, exec_lo
	global_load_b64 v[6:7], v1, s[2:3] offset:24 scope:SCOPE_SYS
	s_wait_loadcnt 0x0
	global_inv scope:SCOPE_SYS
	s_clause 0x1
	global_load_b64 v[4:5], v1, s[2:3] offset:40
	global_load_b64 v[8:9], v1, s[2:3]
	s_wait_loadcnt 0x1
	v_and_b32_e32 v4, v4, v6
	v_and_b32_e32 v5, v5, v7
	s_delay_alu instid0(VALU_DEP_1) | instskip(SKIP_1) | instid1(VALU_DEP_1)
	v_mul_u64_e32 v[4:5], 24, v[4:5]
	s_wait_loadcnt 0x0
	v_add_nc_u64_e32 v[4:5], v[8:9], v[4:5]
	global_load_b64 v[4:5], v[4:5], off scope:SCOPE_SYS
	s_wait_xcnt 0x0
	s_wait_loadcnt 0x0
	global_atomic_cmpswap_b64 v[10:11], v1, v[4:7], s[2:3] offset:24 th:TH_ATOMIC_RETURN scope:SCOPE_SYS
	s_wait_loadcnt 0x0
	global_inv scope:SCOPE_SYS
	s_wait_xcnt 0x0
	v_cmpx_ne_u64_e64 v[10:11], v[6:7]
	s_cbranch_execz .LBB6_1619
; %bb.1616:
	s_mov_b32 s5, 0
.LBB6_1617:                             ; =>This Inner Loop Header: Depth=1
	s_sleep 1
	s_clause 0x1
	global_load_b64 v[4:5], v1, s[2:3] offset:40
	global_load_b64 v[8:9], v1, s[2:3]
	v_mov_b64_e32 v[6:7], v[10:11]
	s_wait_loadcnt 0x1
	s_delay_alu instid0(VALU_DEP_1) | instskip(SKIP_1) | instid1(VALU_DEP_1)
	v_and_b32_e32 v4, v4, v6
	s_wait_loadcnt 0x0
	v_mad_nc_u64_u32 v[8:9], v4, 24, v[8:9]
	s_delay_alu instid0(VALU_DEP_3) | instskip(NEXT) | instid1(VALU_DEP_1)
	v_and_b32_e32 v4, v5, v7
	v_mad_u32 v9, v4, 24, v9
	global_load_b64 v[4:5], v[8:9], off scope:SCOPE_SYS
	s_wait_xcnt 0x0
	s_wait_loadcnt 0x0
	global_atomic_cmpswap_b64 v[10:11], v1, v[4:7], s[2:3] offset:24 th:TH_ATOMIC_RETURN scope:SCOPE_SYS
	s_wait_loadcnt 0x0
	global_inv scope:SCOPE_SYS
	v_cmp_eq_u64_e32 vcc_lo, v[10:11], v[6:7]
	s_or_b32 s5, vcc_lo, s5
	s_wait_xcnt 0x0
	s_and_not1_b32 exec_lo, exec_lo, s5
	s_cbranch_execnz .LBB6_1617
; %bb.1618:
	s_or_b32 exec_lo, exec_lo, s5
.LBB6_1619:
	s_delay_alu instid0(SALU_CYCLE_1)
	s_or_b32 exec_lo, exec_lo, s4
.LBB6_1620:
	s_delay_alu instid0(SALU_CYCLE_1)
	s_or_b32 exec_lo, exec_lo, s1
	v_readfirstlane_b32 s4, v10
	v_mov_b32_e32 v4, 0
	v_readfirstlane_b32 s5, v11
	s_mov_b32 s1, exec_lo
	s_clause 0x1
	global_load_b64 v[12:13], v4, s[2:3] offset:40
	global_load_b128 v[6:9], v4, s[2:3]
	s_wait_loadcnt 0x1
	v_and_b32_e32 v12, s4, v12
	v_and_b32_e32 v13, s5, v13
	s_delay_alu instid0(VALU_DEP_1) | instskip(SKIP_1) | instid1(VALU_DEP_1)
	v_mul_u64_e32 v[10:11], 24, v[12:13]
	s_wait_loadcnt 0x0
	v_add_nc_u64_e32 v[10:11], v[6:7], v[10:11]
	s_wait_xcnt 0x0
	s_and_saveexec_b32 s6, s0
	s_cbranch_execz .LBB6_1622
; %bb.1621:
	v_mov_b64_e32 v[16:17], 0x100000002
	v_dual_mov_b32 v14, s1 :: v_dual_mov_b32 v15, v4
	global_store_b128 v[10:11], v[14:17], off offset:8
.LBB6_1622:
	s_wait_xcnt 0x0
	s_or_b32 exec_lo, exec_lo, s6
	v_lshlrev_b64_e32 v[12:13], 12, v[12:13]
	s_mov_b32 s8, 0
	v_and_or_b32 v2, 0xffffff1d, v2, 34
	s_mov_b32 s10, s8
	s_mov_b32 s11, s8
	;; [unrolled: 1-line block ×3, first 2 shown]
	v_mov_b32_e32 v5, v4
	v_add_nc_u64_e32 v[8:9], v[8:9], v[12:13]
	v_mov_b64_e32 v[14:15], s[10:11]
	v_mov_b64_e32 v[12:13], s[8:9]
	s_delay_alu instid0(VALU_DEP_3) | instskip(NEXT) | instid1(VALU_DEP_4)
	v_readfirstlane_b32 s6, v8
	v_readfirstlane_b32 s7, v9
	s_clause 0x3
	global_store_b128 v0, v[2:5], s[6:7]
	global_store_b128 v0, v[12:15], s[6:7] offset:16
	global_store_b128 v0, v[12:15], s[6:7] offset:32
	;; [unrolled: 1-line block ×3, first 2 shown]
	s_wait_xcnt 0x0
	s_and_saveexec_b32 s1, s0
	s_cbranch_execz .LBB6_1630
; %bb.1623:
	v_dual_mov_b32 v8, 0 :: v_dual_mov_b32 v13, s5
	s_mov_b32 s6, exec_lo
	s_clause 0x1
	global_load_b64 v[14:15], v8, s[2:3] offset:32 scope:SCOPE_SYS
	global_load_b64 v[0:1], v8, s[2:3] offset:40
	s_wait_loadcnt 0x0
	v_dual_mov_b32 v12, s4 :: v_dual_bitop2_b32 v1, s5, v1 bitop3:0x40
	v_and_b32_e32 v0, s4, v0
	s_delay_alu instid0(VALU_DEP_1) | instskip(NEXT) | instid1(VALU_DEP_1)
	v_mul_u64_e32 v[0:1], 24, v[0:1]
	v_add_nc_u64_e32 v[4:5], v[6:7], v[0:1]
	global_store_b64 v[4:5], v[14:15], off
	global_wb scope:SCOPE_SYS
	s_wait_storecnt 0x0
	s_wait_xcnt 0x0
	global_atomic_cmpswap_b64 v[2:3], v8, v[12:15], s[2:3] offset:32 th:TH_ATOMIC_RETURN scope:SCOPE_SYS
	s_wait_loadcnt 0x0
	v_cmpx_ne_u64_e64 v[2:3], v[14:15]
	s_cbranch_execz .LBB6_1626
; %bb.1624:
	s_mov_b32 s7, 0
.LBB6_1625:                             ; =>This Inner Loop Header: Depth=1
	v_dual_mov_b32 v0, s4 :: v_dual_mov_b32 v1, s5
	s_sleep 1
	global_store_b64 v[4:5], v[2:3], off
	global_wb scope:SCOPE_SYS
	s_wait_storecnt 0x0
	s_wait_xcnt 0x0
	global_atomic_cmpswap_b64 v[0:1], v8, v[0:3], s[2:3] offset:32 th:TH_ATOMIC_RETURN scope:SCOPE_SYS
	s_wait_loadcnt 0x0
	v_cmp_eq_u64_e32 vcc_lo, v[0:1], v[2:3]
	v_mov_b64_e32 v[2:3], v[0:1]
	s_or_b32 s7, vcc_lo, s7
	s_delay_alu instid0(SALU_CYCLE_1)
	s_and_not1_b32 exec_lo, exec_lo, s7
	s_cbranch_execnz .LBB6_1625
.LBB6_1626:
	s_or_b32 exec_lo, exec_lo, s6
	v_mov_b32_e32 v3, 0
	s_mov_b32 s7, exec_lo
	s_mov_b32 s6, exec_lo
	v_mbcnt_lo_u32_b32 v2, s7, 0
	global_load_b64 v[0:1], v3, s[2:3] offset:16
	s_wait_xcnt 0x0
	v_cmpx_eq_u32_e32 0, v2
	s_cbranch_execz .LBB6_1628
; %bb.1627:
	s_bcnt1_i32_b32 s7, s7
	s_delay_alu instid0(SALU_CYCLE_1)
	v_mov_b32_e32 v2, s7
	global_wb scope:SCOPE_SYS
	s_wait_loadcnt 0x0
	s_wait_storecnt 0x0
	global_atomic_add_u64 v[0:1], v[2:3], off offset:8 scope:SCOPE_SYS
.LBB6_1628:
	s_wait_xcnt 0x0
	s_or_b32 exec_lo, exec_lo, s6
	s_wait_loadcnt 0x0
	global_load_b64 v[2:3], v[0:1], off offset:16
	s_wait_loadcnt 0x0
	v_cmp_eq_u64_e32 vcc_lo, 0, v[2:3]
	s_cbranch_vccnz .LBB6_1630
; %bb.1629:
	global_load_b32 v0, v[0:1], off offset:24
	s_wait_xcnt 0x0
	v_mov_b32_e32 v1, 0
	s_wait_loadcnt 0x0
	v_readfirstlane_b32 s6, v0
	global_wb scope:SCOPE_SYS
	s_wait_storecnt 0x0
	global_store_b64 v[2:3], v[0:1], off scope:SCOPE_SYS
	s_and_b32 m0, s6, 0xffffff
	s_sendmsg sendmsg(MSG_INTERRUPT)
.LBB6_1630:
	s_wait_xcnt 0x0
	s_or_b32 exec_lo, exec_lo, s1
	s_branch .LBB6_1634
.LBB6_1631:                             ;   in Loop: Header=BB6_1634 Depth=1
	s_wait_xcnt 0x0
	s_or_b32 exec_lo, exec_lo, s1
	s_delay_alu instid0(VALU_DEP_1)
	v_readfirstlane_b32 s1, v0
	s_cmp_eq_u32 s1, 0
	s_cbranch_scc1 .LBB6_1633
; %bb.1632:                             ;   in Loop: Header=BB6_1634 Depth=1
	s_sleep 1
	s_cbranch_execnz .LBB6_1634
	s_branch .LBB6_1636
.LBB6_1633:
	s_branch .LBB6_1636
.LBB6_1634:                             ; =>This Inner Loop Header: Depth=1
	v_mov_b32_e32 v0, 1
	s_and_saveexec_b32 s1, s0
	s_cbranch_execz .LBB6_1631
; %bb.1635:                             ;   in Loop: Header=BB6_1634 Depth=1
	global_load_b32 v0, v[10:11], off offset:20 scope:SCOPE_SYS
	s_wait_loadcnt 0x0
	global_inv scope:SCOPE_SYS
	v_and_b32_e32 v0, 1, v0
	s_branch .LBB6_1631
.LBB6_1636:
	s_and_saveexec_b32 s6, s0
	s_cbranch_execz .LBB6_1640
; %bb.1637:
	v_mov_b32_e32 v6, 0
	s_clause 0x2
	global_load_b64 v[0:1], v6, s[2:3] offset:40
	global_load_b64 v[10:11], v6, s[2:3] offset:24 scope:SCOPE_SYS
	global_load_b64 v[2:3], v6, s[2:3]
	s_wait_loadcnt 0x2
	v_readfirstlane_b32 s8, v0
	v_readfirstlane_b32 s9, v1
	s_add_nc_u64 s[0:1], s[8:9], 1
	s_delay_alu instid0(SALU_CYCLE_1) | instskip(NEXT) | instid1(SALU_CYCLE_1)
	s_add_nc_u64 s[4:5], s[0:1], s[4:5]
	s_cmp_eq_u64 s[4:5], 0
	s_cselect_b32 s1, s1, s5
	s_cselect_b32 s0, s0, s4
	v_mov_b32_e32 v9, s1
	s_and_b64 s[4:5], s[0:1], s[8:9]
	v_mov_b32_e32 v8, s0
	s_mul_u64 s[4:5], s[4:5], 24
	s_wait_loadcnt 0x0
	v_add_nc_u64_e32 v[4:5], s[4:5], v[2:3]
	global_store_b64 v[4:5], v[10:11], off
	global_wb scope:SCOPE_SYS
	s_wait_storecnt 0x0
	s_wait_xcnt 0x0
	global_atomic_cmpswap_b64 v[2:3], v6, v[8:11], s[2:3] offset:24 th:TH_ATOMIC_RETURN scope:SCOPE_SYS
	s_wait_loadcnt 0x0
	v_cmp_ne_u64_e32 vcc_lo, v[2:3], v[10:11]
	s_and_b32 exec_lo, exec_lo, vcc_lo
	s_cbranch_execz .LBB6_1640
; %bb.1638:
	s_mov_b32 s4, 0
.LBB6_1639:                             ; =>This Inner Loop Header: Depth=1
	v_dual_mov_b32 v0, s0 :: v_dual_mov_b32 v1, s1
	s_sleep 1
	global_store_b64 v[4:5], v[2:3], off
	global_wb scope:SCOPE_SYS
	s_wait_storecnt 0x0
	s_wait_xcnt 0x0
	global_atomic_cmpswap_b64 v[0:1], v6, v[0:3], s[2:3] offset:24 th:TH_ATOMIC_RETURN scope:SCOPE_SYS
	s_wait_loadcnt 0x0
	v_cmp_eq_u64_e32 vcc_lo, v[0:1], v[2:3]
	v_mov_b64_e32 v[2:3], v[0:1]
	s_or_b32 s4, vcc_lo, s4
	s_delay_alu instid0(SALU_CYCLE_1)
	s_and_not1_b32 exec_lo, exec_lo, s4
	s_cbranch_execnz .LBB6_1639
.LBB6_1640:
	s_or_b32 exec_lo, exec_lo, s6
.LBB6_1641:
	s_get_pc_i64 s[0:1]
	s_add_nc_u64 s[0:1], s[0:1], .str.29@rel64+4
	s_get_pc_i64 s[2:3]
	s_add_nc_u64 s[2:3], s[2:3], .str.19@rel64+4
	s_get_pc_i64 s[4:5]
	s_add_nc_u64 s[4:5], s[4:5], __PRETTY_FUNCTION__._ZN7VecsMemIjLi8192EE5fetchEi@rel64+4
	v_dual_mov_b32 v0, s0 :: v_dual_mov_b32 v1, s1
	s_wait_loadcnt 0x0
	v_dual_mov_b32 v2, s2 :: v_dual_mov_b32 v3, s3
	v_dual_mov_b32 v4, 12 :: v_dual_mov_b32 v5, s4
	v_mov_b32_e32 v6, s5
	s_get_pc_i64 s[6:7]
	s_add_nc_u64 s[6:7], s[6:7], __assert_fail@rel64+4
	s_mov_b64 s[8:9], s[52:53]
	s_swap_pc_i64 s[30:31], s[6:7]
	s_or_b32 s18, s18, exec_lo
.LBB6_1642:
	s_or_b32 exec_lo, exec_lo, s19
	v_readlane_b32 s1, v73, 0
	s_and_b32 s2, s18, exec_lo
	s_and_b32 s38, s17, exec_lo
	v_readlane_b32 s28, v73, 20
	v_readlane_b32 s20, v73, 10
	s_and_not1_b32 s0, s1, exec_lo
	v_readlane_b32 s21, v73, 9
	s_or_b32 s36, s0, s2
	v_readlane_b32 s22, v73, 8
	v_readlane_b32 s18, v73, 7
	;; [unrolled: 1-line block ×17, first 2 shown]
	s_mov_b32 s29, 0
                                        ; implicit-def: $vgpr60_vgpr61
                                        ; implicit-def: $vgpr42_vgpr43
                                        ; implicit-def: $vgpr41
                                        ; implicit-def: $vgpr56
.LBB6_1643:
	s_and_not1_saveexec_b32 s0, s0
	s_cbranch_execz .LBB6_1853
; %bb.1644:
	v_mbcnt_lo_u32_b32 v57, -1, 0
	v_writelane_b32 v73, s0, 10
	s_add_co_i32 s0, s33, 0x80
	v_dual_mov_b32 v3, v60 :: v_dual_mov_b32 v4, v61
	s_delay_alu instid0(VALU_DEP_3) | instskip(SKIP_3) | instid1(VALU_DEP_3)
	v_dual_mov_b32 v46, s0 :: v_dual_lshlrev_b32 v47, 20, v57
	s_add_co_i32 s0, s33, 0x90
	v_dual_mov_b32 v5, v42 :: v_dual_mov_b32 v6, v43
	v_mov_b32_e32 v2, v41
	v_add_nc_u64_e32 v[0:1], src_flat_scratch_base_lo, v[46:47]
	v_mov_b32_e32 v46, s0
	s_get_pc_i64 s[34:35]
	s_add_nc_u64 s[34:35], s[34:35], _ZN3sop12sopFactorRecEPNS_3SopEiP7VecsMemIjLi8192EEPN8subgUtil4SubgILi256EEE@rel64+4
	s_mov_b64 s[8:9], s[52:53]
	v_writelane_b32 v73, s43, 18
	s_mov_b32 s70, s27
	s_mov_b32 s69, s26
	;; [unrolled: 1-line block ×5, first 2 shown]
	v_add_nc_u64_e32 v[44:45], src_flat_scratch_base_lo, v[46:47]
	s_swap_pc_i64 s[30:31], s[34:35]
	s_delay_alu instid0(VALU_DEP_1) | instskip(NEXT) | instid1(VALU_DEP_2)
	v_dual_mov_b32 v40, v0 :: v_dual_mov_b32 v0, v44
	v_dual_mov_b32 v1, v45 :: v_dual_mov_b32 v2, v41
	;; [unrolled: 1-line block ×4, first 2 shown]
	s_mov_b64 s[8:9], s[52:53]
	s_swap_pc_i64 s[30:31], s[34:35]
	flat_load_b32 v2, v[42:43]
	s_mov_b32 s0, s36
	s_mov_b32 s1, exec_lo
	s_wait_loadcnt_dscnt 0x0
	v_cmpx_lt_i32_e32 0xff, v2
	s_xor_b32 s17, exec_lo, s1
	s_cbranch_execz .LBB6_1646
; %bb.1645:
	s_get_pc_i64 s[0:1]
	s_add_nc_u64 s[0:1], s[0:1], .str.43@rel64+4
	s_get_pc_i64 s[2:3]
	s_add_nc_u64 s[2:3], s[2:3], .str.44@rel64+4
	s_get_pc_i64 s[4:5]
	s_add_nc_u64 s[4:5], s[4:5], __PRETTY_FUNCTION__._ZN8subgUtil4SubgILi256EE10addNodeAndEii@rel64+4
	v_dual_mov_b32 v0, s0 :: v_dual_mov_b32 v1, s1
	v_dual_mov_b32 v2, s2 :: v_dual_mov_b32 v3, s3
	;; [unrolled: 1-line block ×3, first 2 shown]
	v_mov_b32_e32 v6, s5
	s_get_pc_i64 s[6:7]
	s_add_nc_u64 s[6:7], s[6:7], __assert_fail@rel64+4
	s_mov_b64 s[8:9], s[52:53]
	s_swap_pc_i64 s[30:31], s[6:7]
	s_or_b32 s0, s36, exec_lo
                                        ; implicit-def: $vgpr2
                                        ; implicit-def: $vgpr57
                                        ; implicit-def: $vgpr47
                                        ; implicit-def: $vgpr40
                                        ; implicit-def: $vgpr0
                                        ; implicit-def: $vgpr60_vgpr61
                                        ; implicit-def: $vgpr42_vgpr43
                                        ; implicit-def: $vgpr41
                                        ; implicit-def: $vgpr56
.LBB6_1646:
	s_or_saveexec_b32 s37, s17
	s_mov_b32 s1, s38
                                        ; implicit-def: $vgpr44
	s_xor_b32 exec_lo, exec_lo, s37
	s_cbranch_execz .LBB6_1852
; %bb.1647:
	v_writelane_b32 v73, s36, 5
	v_or_b32_e32 v1, v0, v40
	s_mov_b32 s1, -1
	s_mov_b32 s17, s38
	s_mov_b32 s36, s0
	;; [unrolled: 1-line block ×3, first 2 shown]
	v_writelane_b32 v73, s38, 7
                                        ; implicit-def: $vgpr44
	s_mov_b32 s0, exec_lo
	v_cmpx_lt_i32_e32 -1, v1
	s_xor_b32 s38, exec_lo, s0
	s_cbranch_execz .LBB6_1849
; %bb.1648:
	v_dual_ashrrev_i32 v3, 31, v2 :: v_dual_max_i32 v4, v40, v0
	v_dual_add_nc_u32 v6, 1, v2 :: v_dual_min_i32 v1, v40, v0
	s_mov_b32 s0, s36
	s_delay_alu instid0(VALU_DEP_2) | instskip(NEXT) | instid1(VALU_DEP_3)
	v_dual_lshlrev_b32 v0, 1, v4 :: v_dual_lshlrev_b32 v44, 1, v2
	v_lshl_add_u64 v[4:5], v[2:3], 3, v[42:43]
	s_mov_b32 s39, exec_lo
	s_clause 0x1
	flat_store_b32 v[42:43], v6
	flat_store_b64 v[4:5], v[0:1] offset:8
	s_wait_xcnt 0x0
	v_cmpx_ne_u32_e64 v58, v56
	s_cbranch_execz .LBB6_1848
; %bb.1649:
	s_add_co_i32 s0, s33, 0xa0
	v_dual_mov_b32 v3, v60 :: v_dual_mov_b32 v4, v61
	v_dual_mov_b32 v46, s0 :: v_dual_mov_b32 v2, v41
	;; [unrolled: 1-line block ×3, first 2 shown]
	s_mov_b64 s[8:9], s[52:53]
	s_delay_alu instid0(VALU_DEP_2)
	v_add_nc_u64_e32 v[0:1], src_flat_scratch_base_lo, v[46:47]
	s_mov_b32 s48, 0
	s_swap_pc_i64 s[30:31], s[34:35]
	flat_load_b32 v1, v[42:43]
	s_mov_b32 s17, s36
	s_mov_b32 s0, exec_lo
	s_wait_loadcnt_dscnt 0x0
	v_cmpx_lt_i32_e32 0xff, v1
	s_xor_b32 s18, exec_lo, s0
	s_cbranch_execz .LBB6_1651
; %bb.1650:
	s_get_pc_i64 s[0:1]
	s_add_nc_u64 s[0:1], s[0:1], .str.43@rel64+4
	s_get_pc_i64 s[2:3]
	s_add_nc_u64 s[2:3], s[2:3], .str.44@rel64+4
	s_get_pc_i64 s[4:5]
	s_add_nc_u64 s[4:5], s[4:5], __PRETTY_FUNCTION__._ZN8subgUtil4SubgILi256EE9addNodeOrEii@rel64+4
	v_dual_mov_b32 v0, s0 :: v_dual_mov_b32 v1, s1
	v_dual_mov_b32 v2, s2 :: v_dual_mov_b32 v3, s3
	;; [unrolled: 1-line block ×3, first 2 shown]
	v_mov_b32_e32 v6, s5
	s_get_pc_i64 s[6:7]
	s_add_nc_u64 s[6:7], s[6:7], __assert_fail@rel64+4
	s_mov_b64 s[8:9], s[52:53]
	s_swap_pc_i64 s[30:31], s[6:7]
	s_or_b32 s17, s36, exec_lo
                                        ; implicit-def: $vgpr0
                                        ; implicit-def: $vgpr44
                                        ; implicit-def: $vgpr42_vgpr43
                                        ; implicit-def: $vgpr57
.LBB6_1651:
	s_and_not1_saveexec_b32 s18, s18
	s_cbranch_execz .LBB6_1847
; %bb.1652:
	v_min_i32_e32 v5, v44, v0
	v_max_i32_e32 v4, v44, v0
	s_delay_alu instid0(VALU_DEP_2) | instskip(NEXT) | instid1(VALU_DEP_2)
	v_xor_b32_e32 v1, 1, v5
	v_xor_b32_e32 v38, 1, v4
	s_delay_alu instid0(VALU_DEP_1)
	v_cmp_gt_i32_e64 s0, v1, v38
	s_and_saveexec_b32 s16, s0
	s_cbranch_execz .LBB6_1842
; %bb.1653:
	s_load_b64 s[2:3], s[52:53], 0x50
	v_readfirstlane_b32 s1, v57
	v_mov_b64_e32 v[2:3], 0
	s_delay_alu instid0(VALU_DEP_2)
	v_cmp_eq_u32_e64 s1, s1, v57
	s_and_saveexec_b32 s4, s1
	s_cbranch_execz .LBB6_1659
; %bb.1654:
	v_mov_b32_e32 v6, 0
	s_mov_b32 s5, exec_lo
	s_wait_kmcnt 0x0
	global_load_b64 v[10:11], v6, s[2:3] offset:24 scope:SCOPE_SYS
	s_wait_loadcnt 0x0
	global_inv scope:SCOPE_SYS
	s_clause 0x1
	global_load_b64 v[2:3], v6, s[2:3] offset:40
	global_load_b64 v[8:9], v6, s[2:3]
	s_wait_loadcnt 0x1
	v_and_b32_e32 v2, v2, v10
	v_and_b32_e32 v3, v3, v11
	s_delay_alu instid0(VALU_DEP_1) | instskip(SKIP_1) | instid1(VALU_DEP_1)
	v_mul_u64_e32 v[2:3], 24, v[2:3]
	s_wait_loadcnt 0x0
	v_add_nc_u64_e32 v[2:3], v[8:9], v[2:3]
	global_load_b64 v[8:9], v[2:3], off scope:SCOPE_SYS
	s_wait_xcnt 0x0
	s_wait_loadcnt 0x0
	global_atomic_cmpswap_b64 v[2:3], v6, v[8:11], s[2:3] offset:24 th:TH_ATOMIC_RETURN scope:SCOPE_SYS
	s_wait_loadcnt 0x0
	global_inv scope:SCOPE_SYS
	s_wait_xcnt 0x0
	v_cmpx_ne_u64_e64 v[2:3], v[10:11]
	s_cbranch_execz .LBB6_1658
; %bb.1655:
	s_mov_b32 s6, 0
.LBB6_1656:                             ; =>This Inner Loop Header: Depth=1
	s_sleep 1
	s_clause 0x1
	global_load_b64 v[8:9], v6, s[2:3] offset:40
	global_load_b64 v[12:13], v6, s[2:3]
	v_mov_b64_e32 v[10:11], v[2:3]
	s_wait_loadcnt 0x1
	s_delay_alu instid0(VALU_DEP_1) | instskip(NEXT) | instid1(VALU_DEP_2)
	v_and_b32_e32 v2, v8, v10
	v_and_b32_e32 v7, v9, v11
	s_wait_loadcnt 0x0
	s_delay_alu instid0(VALU_DEP_2) | instskip(NEXT) | instid1(VALU_DEP_1)
	v_mad_nc_u64_u32 v[2:3], v2, 24, v[12:13]
	v_mad_u32 v3, v7, 24, v3
	global_load_b64 v[8:9], v[2:3], off scope:SCOPE_SYS
	s_wait_xcnt 0x0
	s_wait_loadcnt 0x0
	global_atomic_cmpswap_b64 v[2:3], v6, v[8:11], s[2:3] offset:24 th:TH_ATOMIC_RETURN scope:SCOPE_SYS
	s_wait_loadcnt 0x0
	global_inv scope:SCOPE_SYS
	v_cmp_eq_u64_e32 vcc_lo, v[2:3], v[10:11]
	s_or_b32 s6, vcc_lo, s6
	s_wait_xcnt 0x0
	s_and_not1_b32 exec_lo, exec_lo, s6
	s_cbranch_execnz .LBB6_1656
; %bb.1657:
	s_or_b32 exec_lo, exec_lo, s6
.LBB6_1658:
	s_delay_alu instid0(SALU_CYCLE_1)
	s_or_b32 exec_lo, exec_lo, s5
.LBB6_1659:
	s_delay_alu instid0(SALU_CYCLE_1)
	s_or_b32 exec_lo, exec_lo, s4
	v_readfirstlane_b32 s4, v2
	v_mov_b32_e32 v7, 0
	v_readfirstlane_b32 s5, v3
	s_mov_b32 s6, exec_lo
	s_wait_kmcnt 0x0
	s_clause 0x1
	global_load_b64 v[8:9], v7, s[2:3] offset:40
	global_load_b128 v[10:13], v7, s[2:3]
	s_wait_loadcnt 0x1
	v_and_b32_e32 v14, s4, v8
	v_and_b32_e32 v15, s5, v9
	s_delay_alu instid0(VALU_DEP_1) | instskip(SKIP_1) | instid1(VALU_DEP_1)
	v_mul_u64_e32 v[2:3], 24, v[14:15]
	s_wait_loadcnt 0x0
	v_add_nc_u64_e32 v[2:3], v[10:11], v[2:3]
	s_wait_xcnt 0x0
	s_and_saveexec_b32 s7, s1
	s_cbranch_execz .LBB6_1661
; %bb.1660:
	v_mov_b64_e32 v[8:9], 0x100000002
	v_mov_b32_e32 v6, s6
	global_store_b128 v[2:3], v[6:9], off offset:8
.LBB6_1661:
	s_wait_xcnt 0x0
	s_or_b32 exec_lo, exec_lo, s7
	v_lshlrev_b64_e32 v[8:9], 12, v[14:15]
	s_mov_b32 s8, 0
	v_dual_lshlrev_b32 v6, 6, v57 :: v_dual_mov_b32 v14, 33
	s_mov_b32 s10, s8
	s_mov_b32 s11, s8
	;; [unrolled: 1-line block ×3, first 2 shown]
	s_delay_alu instid0(VALU_DEP_2)
	v_add_nc_u64_e32 v[12:13], v[12:13], v[8:9]
	v_mov_b64_e32 v[20:21], s[10:11]
	v_mov_b64_e32 v[18:19], s[8:9]
	v_dual_mov_b32 v15, v7 :: v_dual_mov_b32 v16, v7
	v_mov_b32_e32 v17, v7
	v_readfirstlane_b32 s6, v12
	v_readfirstlane_b32 s7, v13
	s_clause 0x3
	global_store_b128 v6, v[14:17], s[6:7]
	global_store_b128 v6, v[18:21], s[6:7] offset:16
	global_store_b128 v6, v[18:21], s[6:7] offset:32
	;; [unrolled: 1-line block ×3, first 2 shown]
	s_wait_xcnt 0x0
	s_and_saveexec_b32 s6, s1
	s_cbranch_execz .LBB6_1668
; %bb.1662:
	v_dual_mov_b32 v16, 0 :: v_dual_mov_b32 v19, s5
	s_mov_b32 s7, exec_lo
	s_clause 0x1
	global_load_b64 v[20:21], v16, s[2:3] offset:32 scope:SCOPE_SYS
	global_load_b64 v[8:9], v16, s[2:3] offset:40
	s_wait_loadcnt 0x0
	v_dual_mov_b32 v18, s4 :: v_dual_bitop2_b32 v9, s5, v9 bitop3:0x40
	v_and_b32_e32 v8, s4, v8
	s_delay_alu instid0(VALU_DEP_1) | instskip(NEXT) | instid1(VALU_DEP_1)
	v_mul_u64_e32 v[8:9], 24, v[8:9]
	v_add_nc_u64_e32 v[14:15], v[10:11], v[8:9]
	global_store_b64 v[14:15], v[20:21], off
	global_wb scope:SCOPE_SYS
	s_wait_storecnt 0x0
	s_wait_xcnt 0x0
	global_atomic_cmpswap_b64 v[10:11], v16, v[18:21], s[2:3] offset:32 th:TH_ATOMIC_RETURN scope:SCOPE_SYS
	s_wait_loadcnt 0x0
	v_cmpx_ne_u64_e64 v[10:11], v[20:21]
	s_cbranch_execz .LBB6_1664
.LBB6_1663:                             ; =>This Inner Loop Header: Depth=1
	v_dual_mov_b32 v8, s4 :: v_dual_mov_b32 v9, s5
	s_sleep 1
	global_store_b64 v[14:15], v[10:11], off
	global_wb scope:SCOPE_SYS
	s_wait_storecnt 0x0
	s_wait_xcnt 0x0
	global_atomic_cmpswap_b64 v[8:9], v16, v[8:11], s[2:3] offset:32 th:TH_ATOMIC_RETURN scope:SCOPE_SYS
	s_wait_loadcnt 0x0
	v_cmp_eq_u64_e32 vcc_lo, v[8:9], v[10:11]
	v_mov_b64_e32 v[10:11], v[8:9]
	s_or_b32 s8, vcc_lo, s8
	s_delay_alu instid0(SALU_CYCLE_1)
	s_and_not1_b32 exec_lo, exec_lo, s8
	s_cbranch_execnz .LBB6_1663
.LBB6_1664:
	s_or_b32 exec_lo, exec_lo, s7
	v_mov_b32_e32 v11, 0
	s_mov_b32 s8, exec_lo
	s_mov_b32 s7, exec_lo
	v_mbcnt_lo_u32_b32 v10, s8, 0
	global_load_b64 v[8:9], v11, s[2:3] offset:16
	s_wait_xcnt 0x0
	v_cmpx_eq_u32_e32 0, v10
	s_cbranch_execz .LBB6_1666
; %bb.1665:
	s_bcnt1_i32_b32 s8, s8
	s_delay_alu instid0(SALU_CYCLE_1)
	v_mov_b32_e32 v10, s8
	global_wb scope:SCOPE_SYS
	s_wait_loadcnt 0x0
	s_wait_storecnt 0x0
	global_atomic_add_u64 v[8:9], v[10:11], off offset:8 scope:SCOPE_SYS
.LBB6_1666:
	s_wait_xcnt 0x0
	s_or_b32 exec_lo, exec_lo, s7
	s_wait_loadcnt 0x0
	global_load_b64 v[10:11], v[8:9], off offset:16
	s_wait_loadcnt 0x0
	v_cmp_eq_u64_e32 vcc_lo, 0, v[10:11]
	s_cbranch_vccnz .LBB6_1668
; %bb.1667:
	global_load_b32 v8, v[8:9], off offset:24
	s_wait_xcnt 0x0
	v_mov_b32_e32 v9, 0
	s_wait_loadcnt 0x0
	v_readfirstlane_b32 s7, v8
	global_wb scope:SCOPE_SYS
	s_wait_storecnt 0x0
	global_store_b64 v[10:11], v[8:9], off scope:SCOPE_SYS
	s_and_b32 m0, s7, 0xffffff
	s_sendmsg sendmsg(MSG_INTERRUPT)
.LBB6_1668:
	s_wait_xcnt 0x0
	s_or_b32 exec_lo, exec_lo, s6
	v_add_nc_u64_e32 v[8:9], v[12:13], v[6:7]
	s_branch .LBB6_1672
.LBB6_1669:                             ;   in Loop: Header=BB6_1672 Depth=1
	s_wait_xcnt 0x0
	s_or_b32 exec_lo, exec_lo, s6
	s_delay_alu instid0(VALU_DEP_1)
	v_readfirstlane_b32 s6, v7
	s_cmp_eq_u32 s6, 0
	s_cbranch_scc1 .LBB6_1671
; %bb.1670:                             ;   in Loop: Header=BB6_1672 Depth=1
	s_sleep 1
	s_cbranch_execnz .LBB6_1672
	s_branch .LBB6_1674
.LBB6_1671:
	s_branch .LBB6_1674
.LBB6_1672:                             ; =>This Inner Loop Header: Depth=1
	v_mov_b32_e32 v7, 1
	s_and_saveexec_b32 s6, s1
	s_cbranch_execz .LBB6_1669
; %bb.1673:                             ;   in Loop: Header=BB6_1672 Depth=1
	global_load_b32 v7, v[2:3], off offset:20 scope:SCOPE_SYS
	s_wait_loadcnt 0x0
	global_inv scope:SCOPE_SYS
	v_and_b32_e32 v7, 1, v7
	s_branch .LBB6_1669
.LBB6_1674:
	global_load_b64 v[8:9], v[8:9], off
	s_wait_xcnt 0x0
	s_and_saveexec_b32 s6, s1
	s_cbranch_execz .LBB6_1678
; %bb.1675:
	v_mov_b32_e32 v7, 0
	s_clause 0x2
	global_load_b64 v[2:3], v7, s[2:3] offset:40
	global_load_b64 v[14:15], v7, s[2:3] offset:24 scope:SCOPE_SYS
	global_load_b64 v[10:11], v7, s[2:3]
	s_wait_loadcnt 0x2
	v_readfirstlane_b32 s8, v2
	v_readfirstlane_b32 s9, v3
	s_add_nc_u64 s[10:11], s[8:9], 1
	s_delay_alu instid0(SALU_CYCLE_1) | instskip(NEXT) | instid1(SALU_CYCLE_1)
	s_add_nc_u64 s[4:5], s[10:11], s[4:5]
	s_cmp_eq_u64 s[4:5], 0
	s_cselect_b32 s5, s11, s5
	s_cselect_b32 s4, s10, s4
	v_mov_b32_e32 v13, s5
	s_and_b64 s[8:9], s[4:5], s[8:9]
	v_mov_b32_e32 v12, s4
	s_mul_u64 s[8:9], s[8:9], 24
	s_wait_loadcnt 0x0
	v_add_nc_u64_e32 v[2:3], s[8:9], v[10:11]
	global_store_b64 v[2:3], v[14:15], off
	global_wb scope:SCOPE_SYS
	s_wait_storecnt 0x0
	s_wait_xcnt 0x0
	global_atomic_cmpswap_b64 v[12:13], v7, v[12:15], s[2:3] offset:24 th:TH_ATOMIC_RETURN scope:SCOPE_SYS
	s_wait_loadcnt 0x0
	v_cmp_ne_u64_e32 vcc_lo, v[12:13], v[14:15]
	s_and_b32 exec_lo, exec_lo, vcc_lo
	s_cbranch_execz .LBB6_1678
; %bb.1676:
	s_mov_b32 s1, 0
.LBB6_1677:                             ; =>This Inner Loop Header: Depth=1
	v_dual_mov_b32 v10, s4 :: v_dual_mov_b32 v11, s5
	s_sleep 1
	global_store_b64 v[2:3], v[12:13], off
	global_wb scope:SCOPE_SYS
	s_wait_storecnt 0x0
	s_wait_xcnt 0x0
	global_atomic_cmpswap_b64 v[10:11], v7, v[10:13], s[2:3] offset:24 th:TH_ATOMIC_RETURN scope:SCOPE_SYS
	s_wait_loadcnt 0x0
	v_cmp_eq_u64_e32 vcc_lo, v[10:11], v[12:13]
	v_mov_b64_e32 v[12:13], v[10:11]
	s_or_b32 s1, vcc_lo, s1
	s_delay_alu instid0(SALU_CYCLE_1)
	s_and_not1_b32 exec_lo, exec_lo, s1
	s_cbranch_execnz .LBB6_1677
.LBB6_1678:
	s_or_b32 exec_lo, exec_lo, s6
	s_get_pc_i64 s[4:5]
	s_add_nc_u64 s[4:5], s[4:5], .str.45@rel64+4
	s_delay_alu instid0(SALU_CYCLE_1)
	s_cmp_lg_u64 s[4:5], 0
	s_cbranch_scc0 .LBB6_1764
; %bb.1679:
	v_mov_b64_e32 v[16:17], 0x100000002
	s_wait_loadcnt 0x0
	v_dual_mov_b32 v15, 0 :: v_dual_bitop2_b32 v2, 2, v8 bitop3:0x40
	v_dual_mov_b32 v11, v9 :: v_dual_bitop2_b32 v10, -3, v8 bitop3:0x40
	s_mov_b64 s[6:7], 7
	s_branch .LBB6_1681
.LBB6_1680:                             ;   in Loop: Header=BB6_1681 Depth=1
	s_or_b32 exec_lo, exec_lo, s12
	s_sub_nc_u64 s[6:7], s[6:7], s[8:9]
	s_add_nc_u64 s[4:5], s[4:5], s[8:9]
	s_cmp_lg_u64 s[6:7], 0
	s_cbranch_scc0 .LBB6_1763
.LBB6_1681:                             ; =>This Loop Header: Depth=1
                                        ;     Child Loop BB6_1684 Depth 2
                                        ;     Child Loop BB6_1692 Depth 2
	;; [unrolled: 1-line block ×11, first 2 shown]
	v_min_u64 v[12:13], s[6:7], 56
	v_cmp_gt_u64_e64 s1, s[6:7], 7
	s_and_b32 vcc_lo, exec_lo, s1
	v_readfirstlane_b32 s8, v12
	v_readfirstlane_b32 s9, v13
	s_cbranch_vccnz .LBB6_1686
; %bb.1682:                             ;   in Loop: Header=BB6_1681 Depth=1
	v_mov_b64_e32 v[12:13], 0
	s_cmp_eq_u64 s[6:7], 0
	s_cbranch_scc1 .LBB6_1685
; %bb.1683:                             ;   in Loop: Header=BB6_1681 Depth=1
	s_mov_b64 s[10:11], 0
	s_mov_b64 s[12:13], 0
.LBB6_1684:                             ;   Parent Loop BB6_1681 Depth=1
                                        ; =>  This Inner Loop Header: Depth=2
	s_wait_xcnt 0x0
	s_add_nc_u64 s[14:15], s[4:5], s[12:13]
	s_add_nc_u64 s[12:13], s[12:13], 1
	global_load_u8 v3, v15, s[14:15]
	s_cmp_lg_u32 s8, s12
	s_wait_loadcnt 0x0
	v_and_b32_e32 v14, 0xffff, v3
	s_delay_alu instid0(VALU_DEP_1) | instskip(SKIP_1) | instid1(VALU_DEP_1)
	v_lshlrev_b64_e32 v[18:19], s10, v[14:15]
	s_add_nc_u64 s[10:11], s[10:11], 8
	v_or_b32_e32 v12, v18, v12
	s_delay_alu instid0(VALU_DEP_2)
	v_or_b32_e32 v13, v19, v13
	s_cbranch_scc1 .LBB6_1684
.LBB6_1685:                             ;   in Loop: Header=BB6_1681 Depth=1
	s_mov_b32 s1, 0
	s_mov_b64 s[12:13], s[4:5]
	s_branch .LBB6_1687
.LBB6_1686:                             ;   in Loop: Header=BB6_1681 Depth=1
	s_add_nc_u64 s[12:13], s[4:5], 8
	s_mov_b32 s1, -1
.LBB6_1687:                             ;   in Loop: Header=BB6_1681 Depth=1
	s_delay_alu instid0(SALU_CYCLE_1)
	s_and_not1_b32 vcc_lo, exec_lo, s1
	s_mov_b32 s1, 0
	s_cbranch_vccnz .LBB6_1689
; %bb.1688:                             ;   in Loop: Header=BB6_1681 Depth=1
	global_load_b64 v[12:13], v15, s[4:5]
	s_add_co_i32 s1, s8, -8
.LBB6_1689:                             ;   in Loop: Header=BB6_1681 Depth=1
	s_delay_alu instid0(SALU_CYCLE_1)
	s_cmp_gt_u32 s1, 7
	s_cbranch_scc1 .LBB6_1694
; %bb.1690:                             ;   in Loop: Header=BB6_1681 Depth=1
	v_mov_b64_e32 v[18:19], 0
	s_cmp_eq_u32 s1, 0
	s_cbranch_scc1 .LBB6_1693
; %bb.1691:                             ;   in Loop: Header=BB6_1681 Depth=1
	s_mov_b64 s[10:11], 0
	s_wait_xcnt 0x0
	s_mov_b64 s[14:15], 0
.LBB6_1692:                             ;   Parent Loop BB6_1681 Depth=1
                                        ; =>  This Inner Loop Header: Depth=2
	s_wait_xcnt 0x0
	s_add_nc_u64 s[20:21], s[12:13], s[14:15]
	s_add_nc_u64 s[14:15], s[14:15], 1
	global_load_u8 v3, v15, s[20:21]
	s_cmp_lg_u32 s1, s14
	s_wait_loadcnt 0x0
	v_and_b32_e32 v14, 0xffff, v3
	s_delay_alu instid0(VALU_DEP_1) | instskip(SKIP_1) | instid1(VALU_DEP_1)
	v_lshlrev_b64_e32 v[20:21], s10, v[14:15]
	s_add_nc_u64 s[10:11], s[10:11], 8
	v_or_b32_e32 v18, v20, v18
	s_delay_alu instid0(VALU_DEP_2)
	v_or_b32_e32 v19, v21, v19
	s_cbranch_scc1 .LBB6_1692
.LBB6_1693:                             ;   in Loop: Header=BB6_1681 Depth=1
	s_wait_xcnt 0x0
	s_mov_b32 s14, 0
	s_mov_b64 s[10:11], s[12:13]
	s_branch .LBB6_1695
.LBB6_1694:                             ;   in Loop: Header=BB6_1681 Depth=1
	s_add_nc_u64 s[10:11], s[12:13], 8
	s_wait_xcnt 0x0
	s_mov_b32 s14, -1
                                        ; implicit-def: $vgpr18_vgpr19
.LBB6_1695:                             ;   in Loop: Header=BB6_1681 Depth=1
	s_delay_alu instid0(SALU_CYCLE_1)
	s_and_not1_b32 vcc_lo, exec_lo, s14
	s_mov_b32 s19, 0
	s_cbranch_vccnz .LBB6_1697
; %bb.1696:                             ;   in Loop: Header=BB6_1681 Depth=1
	global_load_b64 v[18:19], v15, s[12:13]
	s_add_co_i32 s19, s1, -8
.LBB6_1697:                             ;   in Loop: Header=BB6_1681 Depth=1
	s_delay_alu instid0(SALU_CYCLE_1)
	s_cmp_gt_u32 s19, 7
	s_cbranch_scc1 .LBB6_1702
; %bb.1698:                             ;   in Loop: Header=BB6_1681 Depth=1
	v_mov_b64_e32 v[20:21], 0
	s_cmp_eq_u32 s19, 0
	s_cbranch_scc1 .LBB6_1701
; %bb.1699:                             ;   in Loop: Header=BB6_1681 Depth=1
	s_wait_xcnt 0x0
	s_mov_b64 s[12:13], 0
	s_mov_b64 s[14:15], 0
.LBB6_1700:                             ;   Parent Loop BB6_1681 Depth=1
                                        ; =>  This Inner Loop Header: Depth=2
	s_wait_xcnt 0x0
	s_add_nc_u64 s[20:21], s[10:11], s[14:15]
	s_add_nc_u64 s[14:15], s[14:15], 1
	global_load_u8 v3, v15, s[20:21]
	s_cmp_lg_u32 s19, s14
	s_wait_loadcnt 0x0
	v_and_b32_e32 v14, 0xffff, v3
	s_delay_alu instid0(VALU_DEP_1) | instskip(SKIP_1) | instid1(VALU_DEP_1)
	v_lshlrev_b64_e32 v[22:23], s12, v[14:15]
	s_add_nc_u64 s[12:13], s[12:13], 8
	v_or_b32_e32 v20, v22, v20
	s_delay_alu instid0(VALU_DEP_2)
	v_or_b32_e32 v21, v23, v21
	s_cbranch_scc1 .LBB6_1700
.LBB6_1701:                             ;   in Loop: Header=BB6_1681 Depth=1
	s_mov_b32 s1, 0
	s_wait_xcnt 0x0
	s_mov_b64 s[12:13], s[10:11]
	s_branch .LBB6_1703
.LBB6_1702:                             ;   in Loop: Header=BB6_1681 Depth=1
	s_wait_xcnt 0x0
	s_add_nc_u64 s[12:13], s[10:11], 8
	s_mov_b32 s1, -1
.LBB6_1703:                             ;   in Loop: Header=BB6_1681 Depth=1
	s_delay_alu instid0(SALU_CYCLE_1)
	s_and_not1_b32 vcc_lo, exec_lo, s1
	s_mov_b32 s1, 0
	s_cbranch_vccnz .LBB6_1705
; %bb.1704:                             ;   in Loop: Header=BB6_1681 Depth=1
	global_load_b64 v[20:21], v15, s[10:11]
	s_add_co_i32 s1, s19, -8
.LBB6_1705:                             ;   in Loop: Header=BB6_1681 Depth=1
	s_delay_alu instid0(SALU_CYCLE_1)
	s_cmp_gt_u32 s1, 7
	s_cbranch_scc1 .LBB6_1710
; %bb.1706:                             ;   in Loop: Header=BB6_1681 Depth=1
	v_mov_b64_e32 v[22:23], 0
	s_cmp_eq_u32 s1, 0
	s_cbranch_scc1 .LBB6_1709
; %bb.1707:                             ;   in Loop: Header=BB6_1681 Depth=1
	s_wait_xcnt 0x0
	s_mov_b64 s[10:11], 0
	s_mov_b64 s[14:15], 0
.LBB6_1708:                             ;   Parent Loop BB6_1681 Depth=1
                                        ; =>  This Inner Loop Header: Depth=2
	s_wait_xcnt 0x0
	s_add_nc_u64 s[20:21], s[12:13], s[14:15]
	s_add_nc_u64 s[14:15], s[14:15], 1
	global_load_u8 v3, v15, s[20:21]
	s_cmp_lg_u32 s1, s14
	s_wait_loadcnt 0x0
	v_and_b32_e32 v14, 0xffff, v3
	s_delay_alu instid0(VALU_DEP_1) | instskip(SKIP_1) | instid1(VALU_DEP_1)
	v_lshlrev_b64_e32 v[24:25], s10, v[14:15]
	s_add_nc_u64 s[10:11], s[10:11], 8
	v_or_b32_e32 v22, v24, v22
	s_delay_alu instid0(VALU_DEP_2)
	v_or_b32_e32 v23, v25, v23
	s_cbranch_scc1 .LBB6_1708
.LBB6_1709:                             ;   in Loop: Header=BB6_1681 Depth=1
	s_mov_b32 s14, 0
	s_wait_xcnt 0x0
	s_mov_b64 s[10:11], s[12:13]
	s_branch .LBB6_1711
.LBB6_1710:                             ;   in Loop: Header=BB6_1681 Depth=1
	s_wait_xcnt 0x0
	s_add_nc_u64 s[10:11], s[12:13], 8
	s_mov_b32 s14, -1
                                        ; implicit-def: $vgpr22_vgpr23
.LBB6_1711:                             ;   in Loop: Header=BB6_1681 Depth=1
	s_delay_alu instid0(SALU_CYCLE_1)
	s_and_not1_b32 vcc_lo, exec_lo, s14
	s_mov_b32 s19, 0
	s_cbranch_vccnz .LBB6_1713
; %bb.1712:                             ;   in Loop: Header=BB6_1681 Depth=1
	global_load_b64 v[22:23], v15, s[12:13]
	s_add_co_i32 s19, s1, -8
.LBB6_1713:                             ;   in Loop: Header=BB6_1681 Depth=1
	s_delay_alu instid0(SALU_CYCLE_1)
	s_cmp_gt_u32 s19, 7
	s_cbranch_scc1 .LBB6_1718
; %bb.1714:                             ;   in Loop: Header=BB6_1681 Depth=1
	v_mov_b64_e32 v[24:25], 0
	s_cmp_eq_u32 s19, 0
	s_cbranch_scc1 .LBB6_1717
; %bb.1715:                             ;   in Loop: Header=BB6_1681 Depth=1
	s_wait_xcnt 0x0
	s_mov_b64 s[12:13], 0
	s_mov_b64 s[14:15], 0
.LBB6_1716:                             ;   Parent Loop BB6_1681 Depth=1
                                        ; =>  This Inner Loop Header: Depth=2
	s_wait_xcnt 0x0
	s_add_nc_u64 s[20:21], s[10:11], s[14:15]
	s_add_nc_u64 s[14:15], s[14:15], 1
	global_load_u8 v3, v15, s[20:21]
	s_cmp_lg_u32 s19, s14
	s_wait_loadcnt 0x0
	v_and_b32_e32 v14, 0xffff, v3
	s_delay_alu instid0(VALU_DEP_1) | instskip(SKIP_1) | instid1(VALU_DEP_1)
	v_lshlrev_b64_e32 v[26:27], s12, v[14:15]
	s_add_nc_u64 s[12:13], s[12:13], 8
	v_or_b32_e32 v24, v26, v24
	s_delay_alu instid0(VALU_DEP_2)
	v_or_b32_e32 v25, v27, v25
	s_cbranch_scc1 .LBB6_1716
.LBB6_1717:                             ;   in Loop: Header=BB6_1681 Depth=1
	s_mov_b32 s1, 0
	s_wait_xcnt 0x0
	s_mov_b64 s[12:13], s[10:11]
	s_branch .LBB6_1719
.LBB6_1718:                             ;   in Loop: Header=BB6_1681 Depth=1
	s_wait_xcnt 0x0
	s_add_nc_u64 s[12:13], s[10:11], 8
	s_mov_b32 s1, -1
.LBB6_1719:                             ;   in Loop: Header=BB6_1681 Depth=1
	s_delay_alu instid0(SALU_CYCLE_1)
	s_and_not1_b32 vcc_lo, exec_lo, s1
	s_mov_b32 s1, 0
	s_cbranch_vccnz .LBB6_1721
; %bb.1720:                             ;   in Loop: Header=BB6_1681 Depth=1
	global_load_b64 v[24:25], v15, s[10:11]
	s_add_co_i32 s1, s19, -8
.LBB6_1721:                             ;   in Loop: Header=BB6_1681 Depth=1
	s_delay_alu instid0(SALU_CYCLE_1)
	s_cmp_gt_u32 s1, 7
	s_cbranch_scc1 .LBB6_1726
; %bb.1722:                             ;   in Loop: Header=BB6_1681 Depth=1
	v_mov_b64_e32 v[26:27], 0
	s_cmp_eq_u32 s1, 0
	s_cbranch_scc1 .LBB6_1725
; %bb.1723:                             ;   in Loop: Header=BB6_1681 Depth=1
	s_wait_xcnt 0x0
	s_mov_b64 s[10:11], 0
	s_mov_b64 s[14:15], 0
.LBB6_1724:                             ;   Parent Loop BB6_1681 Depth=1
                                        ; =>  This Inner Loop Header: Depth=2
	s_wait_xcnt 0x0
	s_add_nc_u64 s[20:21], s[12:13], s[14:15]
	s_add_nc_u64 s[14:15], s[14:15], 1
	global_load_u8 v3, v15, s[20:21]
	s_cmp_lg_u32 s1, s14
	s_wait_loadcnt 0x0
	v_and_b32_e32 v14, 0xffff, v3
	s_delay_alu instid0(VALU_DEP_1) | instskip(SKIP_1) | instid1(VALU_DEP_1)
	v_lshlrev_b64_e32 v[28:29], s10, v[14:15]
	s_add_nc_u64 s[10:11], s[10:11], 8
	v_or_b32_e32 v26, v28, v26
	s_delay_alu instid0(VALU_DEP_2)
	v_or_b32_e32 v27, v29, v27
	s_cbranch_scc1 .LBB6_1724
.LBB6_1725:                             ;   in Loop: Header=BB6_1681 Depth=1
	s_mov_b32 s14, 0
	s_wait_xcnt 0x0
	s_mov_b64 s[10:11], s[12:13]
	s_branch .LBB6_1727
.LBB6_1726:                             ;   in Loop: Header=BB6_1681 Depth=1
	s_wait_xcnt 0x0
	s_add_nc_u64 s[10:11], s[12:13], 8
	s_mov_b32 s14, -1
                                        ; implicit-def: $vgpr26_vgpr27
.LBB6_1727:                             ;   in Loop: Header=BB6_1681 Depth=1
	s_delay_alu instid0(SALU_CYCLE_1)
	s_and_not1_b32 vcc_lo, exec_lo, s14
	s_mov_b32 s19, 0
	s_cbranch_vccnz .LBB6_1729
; %bb.1728:                             ;   in Loop: Header=BB6_1681 Depth=1
	global_load_b64 v[26:27], v15, s[12:13]
	s_add_co_i32 s19, s1, -8
.LBB6_1729:                             ;   in Loop: Header=BB6_1681 Depth=1
	s_delay_alu instid0(SALU_CYCLE_1)
	s_cmp_gt_u32 s19, 7
	s_cbranch_scc1 .LBB6_1734
; %bb.1730:                             ;   in Loop: Header=BB6_1681 Depth=1
	v_mov_b64_e32 v[28:29], 0
	s_cmp_eq_u32 s19, 0
	s_cbranch_scc1 .LBB6_1733
; %bb.1731:                             ;   in Loop: Header=BB6_1681 Depth=1
	s_wait_xcnt 0x0
	s_mov_b64 s[12:13], 0
	s_mov_b64 s[14:15], s[10:11]
.LBB6_1732:                             ;   Parent Loop BB6_1681 Depth=1
                                        ; =>  This Inner Loop Header: Depth=2
	global_load_u8 v3, v15, s[14:15]
	s_add_co_i32 s19, s19, -1
	s_wait_xcnt 0x0
	s_add_nc_u64 s[14:15], s[14:15], 1
	s_cmp_lg_u32 s19, 0
	s_wait_loadcnt 0x0
	v_and_b32_e32 v14, 0xffff, v3
	s_delay_alu instid0(VALU_DEP_1) | instskip(SKIP_1) | instid1(VALU_DEP_1)
	v_lshlrev_b64_e32 v[30:31], s12, v[14:15]
	s_add_nc_u64 s[12:13], s[12:13], 8
	v_or_b32_e32 v28, v30, v28
	s_delay_alu instid0(VALU_DEP_2)
	v_or_b32_e32 v29, v31, v29
	s_cbranch_scc1 .LBB6_1732
.LBB6_1733:                             ;   in Loop: Header=BB6_1681 Depth=1
	s_mov_b32 s1, 0
	s_branch .LBB6_1735
.LBB6_1734:                             ;   in Loop: Header=BB6_1681 Depth=1
	s_mov_b32 s1, -1
.LBB6_1735:                             ;   in Loop: Header=BB6_1681 Depth=1
	s_delay_alu instid0(SALU_CYCLE_1)
	s_and_not1_b32 vcc_lo, exec_lo, s1
	s_cbranch_vccnz .LBB6_1737
; %bb.1736:                             ;   in Loop: Header=BB6_1681 Depth=1
	global_load_b64 v[28:29], v15, s[10:11]
.LBB6_1737:                             ;   in Loop: Header=BB6_1681 Depth=1
	v_readfirstlane_b32 s1, v57
	v_mov_b64_e32 v[34:35], 0
	s_delay_alu instid0(VALU_DEP_2)
	v_cmp_eq_u32_e64 s1, s1, v57
	s_wait_xcnt 0x0
	s_and_saveexec_b32 s10, s1
	s_cbranch_execz .LBB6_1743
; %bb.1738:                             ;   in Loop: Header=BB6_1681 Depth=1
	global_load_b64 v[32:33], v15, s[2:3] offset:24 scope:SCOPE_SYS
	s_wait_loadcnt 0x0
	global_inv scope:SCOPE_SYS
	s_clause 0x1
	global_load_b64 v[30:31], v15, s[2:3] offset:40
	global_load_b64 v[34:35], v15, s[2:3]
	s_mov_b32 s11, exec_lo
	s_wait_loadcnt 0x1
	v_and_b32_e32 v30, v30, v32
	v_and_b32_e32 v31, v31, v33
	s_delay_alu instid0(VALU_DEP_1) | instskip(SKIP_1) | instid1(VALU_DEP_1)
	v_mul_u64_e32 v[30:31], 24, v[30:31]
	s_wait_loadcnt 0x0
	v_add_nc_u64_e32 v[30:31], v[34:35], v[30:31]
	global_load_b64 v[30:31], v[30:31], off scope:SCOPE_SYS
	s_wait_xcnt 0x0
	s_wait_loadcnt 0x0
	global_atomic_cmpswap_b64 v[34:35], v15, v[30:33], s[2:3] offset:24 th:TH_ATOMIC_RETURN scope:SCOPE_SYS
	s_wait_loadcnt 0x0
	global_inv scope:SCOPE_SYS
	s_wait_xcnt 0x0
	v_cmpx_ne_u64_e64 v[34:35], v[32:33]
	s_cbranch_execz .LBB6_1742
; %bb.1739:                             ;   in Loop: Header=BB6_1681 Depth=1
	s_mov_b32 s12, 0
.LBB6_1740:                             ;   Parent Loop BB6_1681 Depth=1
                                        ; =>  This Inner Loop Header: Depth=2
	s_sleep 1
	s_clause 0x1
	global_load_b64 v[30:31], v15, s[2:3] offset:40
	global_load_b64 v[36:37], v15, s[2:3]
	v_mov_b64_e32 v[32:33], v[34:35]
	s_wait_loadcnt 0x1
	s_delay_alu instid0(VALU_DEP_1) | instskip(SKIP_1) | instid1(VALU_DEP_1)
	v_and_b32_e32 v3, v30, v32
	s_wait_loadcnt 0x0
	v_mad_nc_u64_u32 v[34:35], v3, 24, v[36:37]
	s_delay_alu instid0(VALU_DEP_3) | instskip(NEXT) | instid1(VALU_DEP_1)
	v_and_b32_e32 v3, v31, v33
	v_mad_u32 v35, v3, 24, v35
	global_load_b64 v[30:31], v[34:35], off scope:SCOPE_SYS
	s_wait_xcnt 0x0
	s_wait_loadcnt 0x0
	global_atomic_cmpswap_b64 v[34:35], v15, v[30:33], s[2:3] offset:24 th:TH_ATOMIC_RETURN scope:SCOPE_SYS
	s_wait_loadcnt 0x0
	global_inv scope:SCOPE_SYS
	v_cmp_eq_u64_e32 vcc_lo, v[34:35], v[32:33]
	s_or_b32 s12, vcc_lo, s12
	s_wait_xcnt 0x0
	s_and_not1_b32 exec_lo, exec_lo, s12
	s_cbranch_execnz .LBB6_1740
; %bb.1741:                             ;   in Loop: Header=BB6_1681 Depth=1
	s_or_b32 exec_lo, exec_lo, s12
.LBB6_1742:                             ;   in Loop: Header=BB6_1681 Depth=1
	s_delay_alu instid0(SALU_CYCLE_1)
	s_or_b32 exec_lo, exec_lo, s11
.LBB6_1743:                             ;   in Loop: Header=BB6_1681 Depth=1
	s_delay_alu instid0(SALU_CYCLE_1)
	s_or_b32 exec_lo, exec_lo, s10
	s_clause 0x1
	global_load_b64 v[36:37], v15, s[2:3] offset:40
	global_load_b128 v[30:33], v15, s[2:3]
	v_readfirstlane_b32 s10, v34
	v_readfirstlane_b32 s11, v35
	s_mov_b32 s12, exec_lo
	s_wait_loadcnt 0x1
	v_and_b32_e32 v36, s10, v36
	v_and_b32_e32 v37, s11, v37
	s_delay_alu instid0(VALU_DEP_1) | instskip(SKIP_1) | instid1(VALU_DEP_1)
	v_mul_u64_e32 v[34:35], 24, v[36:37]
	s_wait_loadcnt 0x0
	v_add_nc_u64_e32 v[34:35], v[30:31], v[34:35]
	s_wait_xcnt 0x0
	s_and_saveexec_b32 s13, s1
	s_cbranch_execz .LBB6_1745
; %bb.1744:                             ;   in Loop: Header=BB6_1681 Depth=1
	v_mov_b32_e32 v14, s12
	global_store_b128 v[34:35], v[14:17], off offset:8
.LBB6_1745:                             ;   in Loop: Header=BB6_1681 Depth=1
	s_wait_xcnt 0x0
	s_or_b32 exec_lo, exec_lo, s13
	v_cmp_lt_u64_e64 vcc_lo, s[6:7], 57
	v_lshlrev_b64_e32 v[36:37], 12, v[36:37]
	v_and_b32_e32 v7, 0xffffff1f, v10
	s_lshl_b32 s12, s8, 2
	s_delay_alu instid0(SALU_CYCLE_1) | instskip(SKIP_1) | instid1(VALU_DEP_3)
	s_add_co_i32 s12, s12, 28
	v_cndmask_b32_e32 v3, 0, v2, vcc_lo
	v_add_nc_u64_e32 v[32:33], v[32:33], v[36:37]
	s_delay_alu instid0(VALU_DEP_2) | instskip(NEXT) | instid1(VALU_DEP_2)
	v_or_b32_e32 v3, v7, v3
	v_readfirstlane_b32 s13, v33
	s_delay_alu instid0(VALU_DEP_2) | instskip(NEXT) | instid1(VALU_DEP_4)
	v_and_or_b32 v10, 0x1e0, s12, v3
	v_readfirstlane_b32 s12, v32
	s_clause 0x3
	global_store_b128 v6, v[10:13], s[12:13]
	global_store_b128 v6, v[18:21], s[12:13] offset:16
	global_store_b128 v6, v[22:25], s[12:13] offset:32
	;; [unrolled: 1-line block ×3, first 2 shown]
	s_wait_xcnt 0x0
	s_and_saveexec_b32 s12, s1
	s_cbranch_execz .LBB6_1753
; %bb.1746:                             ;   in Loop: Header=BB6_1681 Depth=1
	s_clause 0x1
	global_load_b64 v[22:23], v15, s[2:3] offset:32 scope:SCOPE_SYS
	global_load_b64 v[10:11], v15, s[2:3] offset:40
	s_mov_b32 s13, exec_lo
	v_dual_mov_b32 v20, s10 :: v_dual_mov_b32 v21, s11
	s_wait_loadcnt 0x0
	v_and_b32_e32 v11, s11, v11
	v_and_b32_e32 v10, s10, v10
	s_delay_alu instid0(VALU_DEP_1) | instskip(NEXT) | instid1(VALU_DEP_1)
	v_mul_u64_e32 v[10:11], 24, v[10:11]
	v_add_nc_u64_e32 v[18:19], v[30:31], v[10:11]
	global_store_b64 v[18:19], v[22:23], off
	global_wb scope:SCOPE_SYS
	s_wait_storecnt 0x0
	s_wait_xcnt 0x0
	global_atomic_cmpswap_b64 v[12:13], v15, v[20:23], s[2:3] offset:32 th:TH_ATOMIC_RETURN scope:SCOPE_SYS
	s_wait_loadcnt 0x0
	v_cmpx_ne_u64_e64 v[12:13], v[22:23]
	s_cbranch_execz .LBB6_1749
; %bb.1747:                             ;   in Loop: Header=BB6_1681 Depth=1
	s_mov_b32 s14, 0
.LBB6_1748:                             ;   Parent Loop BB6_1681 Depth=1
                                        ; =>  This Inner Loop Header: Depth=2
	v_dual_mov_b32 v10, s10 :: v_dual_mov_b32 v11, s11
	s_sleep 1
	global_store_b64 v[18:19], v[12:13], off
	global_wb scope:SCOPE_SYS
	s_wait_storecnt 0x0
	s_wait_xcnt 0x0
	global_atomic_cmpswap_b64 v[10:11], v15, v[10:13], s[2:3] offset:32 th:TH_ATOMIC_RETURN scope:SCOPE_SYS
	s_wait_loadcnt 0x0
	v_cmp_eq_u64_e32 vcc_lo, v[10:11], v[12:13]
	v_mov_b64_e32 v[12:13], v[10:11]
	s_or_b32 s14, vcc_lo, s14
	s_delay_alu instid0(SALU_CYCLE_1)
	s_and_not1_b32 exec_lo, exec_lo, s14
	s_cbranch_execnz .LBB6_1748
.LBB6_1749:                             ;   in Loop: Header=BB6_1681 Depth=1
	s_or_b32 exec_lo, exec_lo, s13
	global_load_b64 v[10:11], v15, s[2:3] offset:16
	s_mov_b32 s14, exec_lo
	s_mov_b32 s13, exec_lo
	v_mbcnt_lo_u32_b32 v3, s14, 0
	s_wait_xcnt 0x0
	s_delay_alu instid0(VALU_DEP_1)
	v_cmpx_eq_u32_e32 0, v3
	s_cbranch_execz .LBB6_1751
; %bb.1750:                             ;   in Loop: Header=BB6_1681 Depth=1
	s_bcnt1_i32_b32 s14, s14
	s_delay_alu instid0(SALU_CYCLE_1)
	v_mov_b32_e32 v14, s14
	global_wb scope:SCOPE_SYS
	s_wait_loadcnt 0x0
	s_wait_storecnt 0x0
	global_atomic_add_u64 v[10:11], v[14:15], off offset:8 scope:SCOPE_SYS
.LBB6_1751:                             ;   in Loop: Header=BB6_1681 Depth=1
	s_wait_xcnt 0x0
	s_or_b32 exec_lo, exec_lo, s13
	s_wait_loadcnt 0x0
	global_load_b64 v[12:13], v[10:11], off offset:16
	s_wait_loadcnt 0x0
	v_cmp_eq_u64_e32 vcc_lo, 0, v[12:13]
	s_cbranch_vccnz .LBB6_1753
; %bb.1752:                             ;   in Loop: Header=BB6_1681 Depth=1
	global_load_b32 v14, v[10:11], off offset:24
	s_wait_loadcnt 0x0
	v_readfirstlane_b32 s13, v14
	global_wb scope:SCOPE_SYS
	s_wait_storecnt 0x0
	s_wait_xcnt 0x0
	global_store_b64 v[12:13], v[14:15], off scope:SCOPE_SYS
	s_and_b32 m0, s13, 0xffffff
	s_sendmsg sendmsg(MSG_INTERRUPT)
.LBB6_1753:                             ;   in Loop: Header=BB6_1681 Depth=1
	s_wait_xcnt 0x0
	s_or_b32 exec_lo, exec_lo, s12
	v_mov_b32_e32 v7, v15
	s_delay_alu instid0(VALU_DEP_1)
	v_add_nc_u64_e32 v[10:11], v[32:33], v[6:7]
	s_branch .LBB6_1757
.LBB6_1754:                             ;   in Loop: Header=BB6_1757 Depth=2
	s_wait_xcnt 0x0
	s_or_b32 exec_lo, exec_lo, s12
	s_delay_alu instid0(VALU_DEP_1)
	v_readfirstlane_b32 s12, v3
	s_cmp_eq_u32 s12, 0
	s_cbranch_scc1 .LBB6_1756
; %bb.1755:                             ;   in Loop: Header=BB6_1757 Depth=2
	s_sleep 1
	s_cbranch_execnz .LBB6_1757
	s_branch .LBB6_1759
.LBB6_1756:                             ;   in Loop: Header=BB6_1681 Depth=1
	s_branch .LBB6_1759
.LBB6_1757:                             ;   Parent Loop BB6_1681 Depth=1
                                        ; =>  This Inner Loop Header: Depth=2
	v_mov_b32_e32 v3, 1
	s_and_saveexec_b32 s12, s1
	s_cbranch_execz .LBB6_1754
; %bb.1758:                             ;   in Loop: Header=BB6_1757 Depth=2
	global_load_b32 v3, v[34:35], off offset:20 scope:SCOPE_SYS
	s_wait_loadcnt 0x0
	global_inv scope:SCOPE_SYS
	v_and_b32_e32 v3, 1, v3
	s_branch .LBB6_1754
.LBB6_1759:                             ;   in Loop: Header=BB6_1681 Depth=1
	global_load_b64 v[10:11], v[10:11], off
	s_wait_xcnt 0x0
	s_and_saveexec_b32 s12, s1
	s_cbranch_execz .LBB6_1680
; %bb.1760:                             ;   in Loop: Header=BB6_1681 Depth=1
	s_clause 0x2
	global_load_b64 v[12:13], v15, s[2:3] offset:40
	global_load_b64 v[22:23], v15, s[2:3] offset:24 scope:SCOPE_SYS
	global_load_b64 v[18:19], v15, s[2:3]
	s_wait_loadcnt 0x2
	v_readfirstlane_b32 s14, v12
	v_readfirstlane_b32 s15, v13
	s_add_nc_u64 s[20:21], s[14:15], 1
	s_delay_alu instid0(SALU_CYCLE_1) | instskip(NEXT) | instid1(SALU_CYCLE_1)
	s_add_nc_u64 s[10:11], s[20:21], s[10:11]
	s_cmp_eq_u64 s[10:11], 0
	s_cselect_b32 s11, s21, s11
	s_cselect_b32 s10, s20, s10
	s_delay_alu instid0(SALU_CYCLE_1) | instskip(SKIP_1) | instid1(SALU_CYCLE_1)
	v_dual_mov_b32 v21, s11 :: v_dual_mov_b32 v20, s10
	s_and_b64 s[14:15], s[10:11], s[14:15]
	s_mul_u64 s[14:15], s[14:15], 24
	s_wait_loadcnt 0x0
	v_add_nc_u64_e32 v[12:13], s[14:15], v[18:19]
	global_store_b64 v[12:13], v[22:23], off
	global_wb scope:SCOPE_SYS
	s_wait_storecnt 0x0
	s_wait_xcnt 0x0
	global_atomic_cmpswap_b64 v[20:21], v15, v[20:23], s[2:3] offset:24 th:TH_ATOMIC_RETURN scope:SCOPE_SYS
	s_wait_loadcnt 0x0
	v_cmp_ne_u64_e32 vcc_lo, v[20:21], v[22:23]
	s_and_b32 exec_lo, exec_lo, vcc_lo
	s_cbranch_execz .LBB6_1680
; %bb.1761:                             ;   in Loop: Header=BB6_1681 Depth=1
	s_mov_b32 s1, 0
.LBB6_1762:                             ;   Parent Loop BB6_1681 Depth=1
                                        ; =>  This Inner Loop Header: Depth=2
	v_dual_mov_b32 v18, s10 :: v_dual_mov_b32 v19, s11
	s_sleep 1
	global_store_b64 v[12:13], v[20:21], off
	global_wb scope:SCOPE_SYS
	s_wait_storecnt 0x0
	s_wait_xcnt 0x0
	global_atomic_cmpswap_b64 v[18:19], v15, v[18:21], s[2:3] offset:24 th:TH_ATOMIC_RETURN scope:SCOPE_SYS
	s_wait_loadcnt 0x0
	v_cmp_eq_u64_e32 vcc_lo, v[18:19], v[20:21]
	v_mov_b64_e32 v[20:21], v[18:19]
	s_or_b32 s1, vcc_lo, s1
	s_delay_alu instid0(SALU_CYCLE_1)
	s_and_not1_b32 exec_lo, exec_lo, s1
	s_cbranch_execnz .LBB6_1762
	s_branch .LBB6_1680
.LBB6_1763:
	s_mov_b32 s1, 0
	s_branch .LBB6_1765
.LBB6_1764:
	s_mov_b32 s1, -1
                                        ; implicit-def: $vgpr10_vgpr11
.LBB6_1765:
	s_delay_alu instid0(SALU_CYCLE_1)
	s_and_b32 vcc_lo, exec_lo, s1
	s_cbranch_vccz .LBB6_1792
; %bb.1766:
	v_readfirstlane_b32 s1, v57
	v_mov_b64_e32 v[2:3], 0
	s_delay_alu instid0(VALU_DEP_2)
	v_cmp_eq_u32_e64 s1, s1, v57
	s_and_saveexec_b32 s4, s1
	s_cbranch_execz .LBB6_1772
; %bb.1767:
	v_mov_b32_e32 v7, 0
	s_mov_b32 s5, exec_lo
	global_load_b64 v[12:13], v7, s[2:3] offset:24 scope:SCOPE_SYS
	s_wait_loadcnt 0x0
	global_inv scope:SCOPE_SYS
	s_clause 0x1
	global_load_b64 v[2:3], v7, s[2:3] offset:40
	global_load_b64 v[10:11], v7, s[2:3]
	s_wait_loadcnt 0x1
	v_and_b32_e32 v2, v2, v12
	v_and_b32_e32 v3, v3, v13
	s_delay_alu instid0(VALU_DEP_1) | instskip(SKIP_1) | instid1(VALU_DEP_1)
	v_mul_u64_e32 v[2:3], 24, v[2:3]
	s_wait_loadcnt 0x0
	v_add_nc_u64_e32 v[2:3], v[10:11], v[2:3]
	global_load_b64 v[10:11], v[2:3], off scope:SCOPE_SYS
	s_wait_xcnt 0x0
	s_wait_loadcnt 0x0
	global_atomic_cmpswap_b64 v[2:3], v7, v[10:13], s[2:3] offset:24 th:TH_ATOMIC_RETURN scope:SCOPE_SYS
	s_wait_loadcnt 0x0
	global_inv scope:SCOPE_SYS
	s_wait_xcnt 0x0
	v_cmpx_ne_u64_e64 v[2:3], v[12:13]
	s_cbranch_execz .LBB6_1771
; %bb.1768:
	s_mov_b32 s6, 0
.LBB6_1769:                             ; =>This Inner Loop Header: Depth=1
	s_sleep 1
	s_clause 0x1
	global_load_b64 v[10:11], v7, s[2:3] offset:40
	global_load_b64 v[14:15], v7, s[2:3]
	v_mov_b64_e32 v[12:13], v[2:3]
	s_wait_loadcnt 0x1
	s_delay_alu instid0(VALU_DEP_1) | instskip(NEXT) | instid1(VALU_DEP_2)
	v_and_b32_e32 v2, v10, v12
	v_and_b32_e32 v10, v11, v13
	s_wait_loadcnt 0x0
	s_delay_alu instid0(VALU_DEP_2) | instskip(NEXT) | instid1(VALU_DEP_1)
	v_mad_nc_u64_u32 v[2:3], v2, 24, v[14:15]
	v_mad_u32 v3, v10, 24, v3
	global_load_b64 v[10:11], v[2:3], off scope:SCOPE_SYS
	s_wait_xcnt 0x0
	s_wait_loadcnt 0x0
	global_atomic_cmpswap_b64 v[2:3], v7, v[10:13], s[2:3] offset:24 th:TH_ATOMIC_RETURN scope:SCOPE_SYS
	s_wait_loadcnt 0x0
	global_inv scope:SCOPE_SYS
	v_cmp_eq_u64_e32 vcc_lo, v[2:3], v[12:13]
	s_or_b32 s6, vcc_lo, s6
	s_wait_xcnt 0x0
	s_and_not1_b32 exec_lo, exec_lo, s6
	s_cbranch_execnz .LBB6_1769
; %bb.1770:
	s_or_b32 exec_lo, exec_lo, s6
.LBB6_1771:
	s_delay_alu instid0(SALU_CYCLE_1)
	s_or_b32 exec_lo, exec_lo, s5
.LBB6_1772:
	s_delay_alu instid0(SALU_CYCLE_1)
	s_or_b32 exec_lo, exec_lo, s4
	v_readfirstlane_b32 s4, v2
	v_mov_b32_e32 v7, 0
	v_readfirstlane_b32 s5, v3
	s_mov_b32 s6, exec_lo
	s_wait_loadcnt 0x0
	s_clause 0x1
	global_load_b64 v[10:11], v7, s[2:3] offset:40
	global_load_b128 v[12:15], v7, s[2:3]
	s_wait_loadcnt 0x1
	v_and_b32_e32 v10, s4, v10
	v_and_b32_e32 v11, s5, v11
	s_delay_alu instid0(VALU_DEP_1) | instskip(SKIP_1) | instid1(VALU_DEP_1)
	v_mul_u64_e32 v[2:3], 24, v[10:11]
	s_wait_loadcnt 0x0
	v_add_nc_u64_e32 v[2:3], v[12:13], v[2:3]
	s_wait_xcnt 0x0
	s_and_saveexec_b32 s7, s1
	s_cbranch_execz .LBB6_1774
; %bb.1773:
	v_mov_b64_e32 v[18:19], 0x100000002
	v_dual_mov_b32 v16, s6 :: v_dual_mov_b32 v17, v7
	global_store_b128 v[2:3], v[16:19], off offset:8
.LBB6_1774:
	s_wait_xcnt 0x0
	s_or_b32 exec_lo, exec_lo, s7
	v_lshlrev_b64_e32 v[10:11], 12, v[10:11]
	s_mov_b32 s8, 0
	v_and_or_b32 v8, 0xffffff1f, v8, 32
	s_mov_b32 s10, s8
	s_mov_b32 s11, s8
	;; [unrolled: 1-line block ×3, first 2 shown]
	v_mov_b64_e32 v[18:19], s[10:11]
	v_add_nc_u64_e32 v[14:15], v[14:15], v[10:11]
	v_mov_b64_e32 v[16:17], s[8:9]
	v_dual_mov_b32 v10, v7 :: v_dual_mov_b32 v11, v7
	s_delay_alu instid0(VALU_DEP_3) | instskip(NEXT) | instid1(VALU_DEP_4)
	v_readfirstlane_b32 s6, v14
	v_readfirstlane_b32 s7, v15
	s_clause 0x3
	global_store_b128 v6, v[8:11], s[6:7]
	global_store_b128 v6, v[16:19], s[6:7] offset:16
	global_store_b128 v6, v[16:19], s[6:7] offset:32
	;; [unrolled: 1-line block ×3, first 2 shown]
	s_wait_xcnt 0x0
	s_and_saveexec_b32 s6, s1
	s_cbranch_execz .LBB6_1781
; %bb.1775:
	v_dual_mov_b32 v16, 0 :: v_dual_mov_b32 v19, s5
	s_mov_b32 s7, exec_lo
	s_clause 0x1
	global_load_b64 v[20:21], v16, s[2:3] offset:32 scope:SCOPE_SYS
	global_load_b64 v[8:9], v16, s[2:3] offset:40
	s_wait_loadcnt 0x0
	v_dual_mov_b32 v18, s4 :: v_dual_bitop2_b32 v9, s5, v9 bitop3:0x40
	v_and_b32_e32 v8, s4, v8
	s_delay_alu instid0(VALU_DEP_1) | instskip(NEXT) | instid1(VALU_DEP_1)
	v_mul_u64_e32 v[8:9], 24, v[8:9]
	v_add_nc_u64_e32 v[12:13], v[12:13], v[8:9]
	global_store_b64 v[12:13], v[20:21], off
	global_wb scope:SCOPE_SYS
	s_wait_storecnt 0x0
	s_wait_xcnt 0x0
	global_atomic_cmpswap_b64 v[10:11], v16, v[18:21], s[2:3] offset:32 th:TH_ATOMIC_RETURN scope:SCOPE_SYS
	s_wait_loadcnt 0x0
	v_cmpx_ne_u64_e64 v[10:11], v[20:21]
	s_cbranch_execz .LBB6_1777
.LBB6_1776:                             ; =>This Inner Loop Header: Depth=1
	v_dual_mov_b32 v8, s4 :: v_dual_mov_b32 v9, s5
	s_sleep 1
	global_store_b64 v[12:13], v[10:11], off
	global_wb scope:SCOPE_SYS
	s_wait_storecnt 0x0
	s_wait_xcnt 0x0
	global_atomic_cmpswap_b64 v[8:9], v16, v[8:11], s[2:3] offset:32 th:TH_ATOMIC_RETURN scope:SCOPE_SYS
	s_wait_loadcnt 0x0
	v_cmp_eq_u64_e32 vcc_lo, v[8:9], v[10:11]
	v_mov_b64_e32 v[10:11], v[8:9]
	s_or_b32 s8, vcc_lo, s8
	s_delay_alu instid0(SALU_CYCLE_1)
	s_and_not1_b32 exec_lo, exec_lo, s8
	s_cbranch_execnz .LBB6_1776
.LBB6_1777:
	s_or_b32 exec_lo, exec_lo, s7
	v_mov_b32_e32 v11, 0
	s_mov_b32 s8, exec_lo
	s_mov_b32 s7, exec_lo
	v_mbcnt_lo_u32_b32 v10, s8, 0
	global_load_b64 v[8:9], v11, s[2:3] offset:16
	s_wait_xcnt 0x0
	v_cmpx_eq_u32_e32 0, v10
	s_cbranch_execz .LBB6_1779
; %bb.1778:
	s_bcnt1_i32_b32 s8, s8
	s_delay_alu instid0(SALU_CYCLE_1)
	v_mov_b32_e32 v10, s8
	global_wb scope:SCOPE_SYS
	s_wait_loadcnt 0x0
	s_wait_storecnt 0x0
	global_atomic_add_u64 v[8:9], v[10:11], off offset:8 scope:SCOPE_SYS
.LBB6_1779:
	s_wait_xcnt 0x0
	s_or_b32 exec_lo, exec_lo, s7
	s_wait_loadcnt 0x0
	global_load_b64 v[10:11], v[8:9], off offset:16
	s_wait_loadcnt 0x0
	v_cmp_eq_u64_e32 vcc_lo, 0, v[10:11]
	s_cbranch_vccnz .LBB6_1781
; %bb.1780:
	global_load_b32 v8, v[8:9], off offset:24
	s_wait_xcnt 0x0
	v_mov_b32_e32 v9, 0
	s_wait_loadcnt 0x0
	v_readfirstlane_b32 s7, v8
	global_wb scope:SCOPE_SYS
	s_wait_storecnt 0x0
	global_store_b64 v[10:11], v[8:9], off scope:SCOPE_SYS
	s_and_b32 m0, s7, 0xffffff
	s_sendmsg sendmsg(MSG_INTERRUPT)
.LBB6_1781:
	s_wait_xcnt 0x0
	s_or_b32 exec_lo, exec_lo, s6
	v_add_nc_u64_e32 v[8:9], v[14:15], v[6:7]
	s_branch .LBB6_1785
.LBB6_1782:                             ;   in Loop: Header=BB6_1785 Depth=1
	s_wait_xcnt 0x0
	s_or_b32 exec_lo, exec_lo, s6
	s_delay_alu instid0(VALU_DEP_1)
	v_readfirstlane_b32 s6, v7
	s_cmp_eq_u32 s6, 0
	s_cbranch_scc1 .LBB6_1784
; %bb.1783:                             ;   in Loop: Header=BB6_1785 Depth=1
	s_sleep 1
	s_cbranch_execnz .LBB6_1785
	s_branch .LBB6_1787
.LBB6_1784:
	s_branch .LBB6_1787
.LBB6_1785:                             ; =>This Inner Loop Header: Depth=1
	v_mov_b32_e32 v7, 1
	s_and_saveexec_b32 s6, s1
	s_cbranch_execz .LBB6_1782
; %bb.1786:                             ;   in Loop: Header=BB6_1785 Depth=1
	global_load_b32 v7, v[2:3], off offset:20 scope:SCOPE_SYS
	s_wait_loadcnt 0x0
	global_inv scope:SCOPE_SYS
	v_and_b32_e32 v7, 1, v7
	s_branch .LBB6_1782
.LBB6_1787:
	global_load_b64 v[10:11], v[8:9], off
	s_wait_xcnt 0x0
	s_and_saveexec_b32 s6, s1
	s_cbranch_execz .LBB6_1791
; %bb.1788:
	v_mov_b32_e32 v7, 0
	s_clause 0x2
	global_load_b64 v[2:3], v7, s[2:3] offset:40
	global_load_b64 v[16:17], v7, s[2:3] offset:24 scope:SCOPE_SYS
	global_load_b64 v[8:9], v7, s[2:3]
	s_wait_loadcnt 0x2
	v_readfirstlane_b32 s8, v2
	v_readfirstlane_b32 s9, v3
	s_add_nc_u64 s[10:11], s[8:9], 1
	s_delay_alu instid0(SALU_CYCLE_1) | instskip(NEXT) | instid1(SALU_CYCLE_1)
	s_add_nc_u64 s[4:5], s[10:11], s[4:5]
	s_cmp_eq_u64 s[4:5], 0
	s_cselect_b32 s5, s11, s5
	s_cselect_b32 s4, s10, s4
	v_mov_b32_e32 v15, s5
	s_and_b64 s[8:9], s[4:5], s[8:9]
	v_mov_b32_e32 v14, s4
	s_mul_u64 s[8:9], s[8:9], 24
	s_wait_loadcnt 0x0
	v_add_nc_u64_e32 v[2:3], s[8:9], v[8:9]
	global_store_b64 v[2:3], v[16:17], off
	global_wb scope:SCOPE_SYS
	s_wait_storecnt 0x0
	s_wait_xcnt 0x0
	global_atomic_cmpswap_b64 v[14:15], v7, v[14:17], s[2:3] offset:24 th:TH_ATOMIC_RETURN scope:SCOPE_SYS
	s_wait_loadcnt 0x0
	v_cmp_ne_u64_e32 vcc_lo, v[14:15], v[16:17]
	s_and_b32 exec_lo, exec_lo, vcc_lo
	s_cbranch_execz .LBB6_1791
; %bb.1789:
	s_mov_b32 s1, 0
.LBB6_1790:                             ; =>This Inner Loop Header: Depth=1
	v_dual_mov_b32 v12, s4 :: v_dual_mov_b32 v13, s5
	s_sleep 1
	global_store_b64 v[2:3], v[14:15], off
	global_wb scope:SCOPE_SYS
	s_wait_storecnt 0x0
	s_wait_xcnt 0x0
	global_atomic_cmpswap_b64 v[8:9], v7, v[12:15], s[2:3] offset:24 th:TH_ATOMIC_RETURN scope:SCOPE_SYS
	s_wait_loadcnt 0x0
	v_cmp_eq_u64_e32 vcc_lo, v[8:9], v[14:15]
	v_mov_b64_e32 v[14:15], v[8:9]
	s_or_b32 s1, vcc_lo, s1
	s_delay_alu instid0(SALU_CYCLE_1)
	s_and_not1_b32 exec_lo, exec_lo, s1
	s_cbranch_execnz .LBB6_1790
.LBB6_1791:
	s_or_b32 exec_lo, exec_lo, s6
.LBB6_1792:
	v_readfirstlane_b32 s1, v57
	v_mov_b64_e32 v[2:3], 0
	s_delay_alu instid0(VALU_DEP_2)
	v_cmp_eq_u32_e64 s1, s1, v57
	s_and_saveexec_b32 s4, s1
	s_cbranch_execz .LBB6_1798
; %bb.1793:
	v_mov_b32_e32 v7, 0
	s_mov_b32 s5, exec_lo
	global_load_b64 v[14:15], v7, s[2:3] offset:24 scope:SCOPE_SYS
	s_wait_loadcnt 0x0
	global_inv scope:SCOPE_SYS
	s_clause 0x1
	global_load_b64 v[2:3], v7, s[2:3] offset:40
	global_load_b64 v[8:9], v7, s[2:3]
	s_wait_loadcnt 0x1
	v_and_b32_e32 v2, v2, v14
	v_and_b32_e32 v3, v3, v15
	s_delay_alu instid0(VALU_DEP_1) | instskip(SKIP_1) | instid1(VALU_DEP_1)
	v_mul_u64_e32 v[2:3], 24, v[2:3]
	s_wait_loadcnt 0x0
	v_add_nc_u64_e32 v[2:3], v[8:9], v[2:3]
	global_load_b64 v[12:13], v[2:3], off scope:SCOPE_SYS
	s_wait_xcnt 0x0
	s_wait_loadcnt 0x0
	global_atomic_cmpswap_b64 v[2:3], v7, v[12:15], s[2:3] offset:24 th:TH_ATOMIC_RETURN scope:SCOPE_SYS
	s_wait_loadcnt 0x0
	global_inv scope:SCOPE_SYS
	s_wait_xcnt 0x0
	v_cmpx_ne_u64_e64 v[2:3], v[14:15]
	s_cbranch_execz .LBB6_1797
; %bb.1794:
	s_mov_b32 s6, 0
.LBB6_1795:                             ; =>This Inner Loop Header: Depth=1
	s_sleep 1
	s_clause 0x1
	global_load_b64 v[8:9], v7, s[2:3] offset:40
	global_load_b64 v[12:13], v7, s[2:3]
	v_mov_b64_e32 v[14:15], v[2:3]
	s_wait_loadcnt 0x1
	s_delay_alu instid0(VALU_DEP_1) | instskip(NEXT) | instid1(VALU_DEP_2)
	v_and_b32_e32 v2, v8, v14
	v_and_b32_e32 v8, v9, v15
	s_wait_loadcnt 0x0
	s_delay_alu instid0(VALU_DEP_2) | instskip(NEXT) | instid1(VALU_DEP_1)
	v_mad_nc_u64_u32 v[2:3], v2, 24, v[12:13]
	v_mad_u32 v3, v8, 24, v3
	global_load_b64 v[12:13], v[2:3], off scope:SCOPE_SYS
	s_wait_xcnt 0x0
	s_wait_loadcnt 0x0
	global_atomic_cmpswap_b64 v[2:3], v7, v[12:15], s[2:3] offset:24 th:TH_ATOMIC_RETURN scope:SCOPE_SYS
	s_wait_loadcnt 0x0
	global_inv scope:SCOPE_SYS
	v_cmp_eq_u64_e32 vcc_lo, v[2:3], v[14:15]
	s_or_b32 s6, vcc_lo, s6
	s_wait_xcnt 0x0
	s_and_not1_b32 exec_lo, exec_lo, s6
	s_cbranch_execnz .LBB6_1795
; %bb.1796:
	s_or_b32 exec_lo, exec_lo, s6
.LBB6_1797:
	s_delay_alu instid0(SALU_CYCLE_1)
	s_or_b32 exec_lo, exec_lo, s5
.LBB6_1798:
	s_delay_alu instid0(SALU_CYCLE_1)
	s_or_b32 exec_lo, exec_lo, s4
	v_readfirstlane_b32 s4, v2
	v_mov_b32_e32 v7, 0
	v_readfirstlane_b32 s5, v3
	s_mov_b32 s6, exec_lo
	s_wait_loadcnt 0x0
	s_clause 0x1
	global_load_b64 v[8:9], v7, s[2:3] offset:40
	global_load_b128 v[14:17], v7, s[2:3]
	s_wait_loadcnt 0x1
	v_and_b32_e32 v8, s4, v8
	v_and_b32_e32 v9, s5, v9
	s_delay_alu instid0(VALU_DEP_1) | instskip(SKIP_1) | instid1(VALU_DEP_1)
	v_mul_u64_e32 v[2:3], 24, v[8:9]
	s_wait_loadcnt 0x0
	v_add_nc_u64_e32 v[2:3], v[14:15], v[2:3]
	s_wait_xcnt 0x0
	s_and_saveexec_b32 s7, s1
	s_cbranch_execz .LBB6_1800
; %bb.1799:
	v_mov_b64_e32 v[20:21], 0x100000002
	v_dual_mov_b32 v18, s6 :: v_dual_mov_b32 v19, v7
	global_store_b128 v[2:3], v[18:21], off offset:8
.LBB6_1800:
	s_wait_xcnt 0x0
	s_or_b32 exec_lo, exec_lo, s7
	v_lshlrev_b64_e32 v[8:9], 12, v[8:9]
	s_mov_b32 s8, 0
	v_and_or_b32 v10, 0xffffff1f, v10, 32
	s_mov_b32 s10, s8
	s_mov_b32 s11, s8
	;; [unrolled: 1-line block ×3, first 2 shown]
	v_mov_b64_e32 v[20:21], s[10:11]
	v_add_nc_u64_e32 v[16:17], v[16:17], v[8:9]
	v_mov_b64_e32 v[18:19], s[8:9]
	v_dual_mov_b32 v12, v5 :: v_dual_mov_b32 v13, v7
	s_delay_alu instid0(VALU_DEP_3) | instskip(NEXT) | instid1(VALU_DEP_4)
	v_readfirstlane_b32 s6, v16
	v_readfirstlane_b32 s7, v17
	s_clause 0x3
	global_store_b128 v6, v[10:13], s[6:7]
	global_store_b128 v6, v[18:21], s[6:7] offset:16
	global_store_b128 v6, v[18:21], s[6:7] offset:32
	;; [unrolled: 1-line block ×3, first 2 shown]
	s_wait_xcnt 0x0
	s_and_saveexec_b32 s6, s1
	s_cbranch_execz .LBB6_1807
; %bb.1801:
	v_dual_mov_b32 v5, 0 :: v_dual_mov_b32 v19, s5
	s_mov_b32 s7, exec_lo
	s_clause 0x1
	global_load_b64 v[20:21], v5, s[2:3] offset:32 scope:SCOPE_SYS
	global_load_b64 v[8:9], v5, s[2:3] offset:40
	s_wait_loadcnt 0x0
	v_dual_mov_b32 v18, s4 :: v_dual_bitop2_b32 v9, s5, v9 bitop3:0x40
	v_and_b32_e32 v8, s4, v8
	s_delay_alu instid0(VALU_DEP_1) | instskip(NEXT) | instid1(VALU_DEP_1)
	v_mul_u64_e32 v[8:9], 24, v[8:9]
	v_add_nc_u64_e32 v[12:13], v[14:15], v[8:9]
	global_store_b64 v[12:13], v[20:21], off
	global_wb scope:SCOPE_SYS
	s_wait_storecnt 0x0
	s_wait_xcnt 0x0
	global_atomic_cmpswap_b64 v[10:11], v5, v[18:21], s[2:3] offset:32 th:TH_ATOMIC_RETURN scope:SCOPE_SYS
	s_wait_loadcnt 0x0
	v_cmpx_ne_u64_e64 v[10:11], v[20:21]
	s_cbranch_execz .LBB6_1803
.LBB6_1802:                             ; =>This Inner Loop Header: Depth=1
	v_dual_mov_b32 v8, s4 :: v_dual_mov_b32 v9, s5
	s_sleep 1
	global_store_b64 v[12:13], v[10:11], off
	global_wb scope:SCOPE_SYS
	s_wait_storecnt 0x0
	s_wait_xcnt 0x0
	global_atomic_cmpswap_b64 v[8:9], v5, v[8:11], s[2:3] offset:32 th:TH_ATOMIC_RETURN scope:SCOPE_SYS
	s_wait_loadcnt 0x0
	v_cmp_eq_u64_e32 vcc_lo, v[8:9], v[10:11]
	v_mov_b64_e32 v[10:11], v[8:9]
	s_or_b32 s8, vcc_lo, s8
	s_delay_alu instid0(SALU_CYCLE_1)
	s_and_not1_b32 exec_lo, exec_lo, s8
	s_cbranch_execnz .LBB6_1802
.LBB6_1803:
	s_or_b32 exec_lo, exec_lo, s7
	v_mov_b32_e32 v11, 0
	s_mov_b32 s8, exec_lo
	s_mov_b32 s7, exec_lo
	v_mbcnt_lo_u32_b32 v5, s8, 0
	global_load_b64 v[8:9], v11, s[2:3] offset:16
	s_wait_xcnt 0x0
	v_cmpx_eq_u32_e32 0, v5
	s_cbranch_execz .LBB6_1805
; %bb.1804:
	s_bcnt1_i32_b32 s8, s8
	s_delay_alu instid0(SALU_CYCLE_1)
	v_mov_b32_e32 v10, s8
	global_wb scope:SCOPE_SYS
	s_wait_loadcnt 0x0
	s_wait_storecnt 0x0
	global_atomic_add_u64 v[8:9], v[10:11], off offset:8 scope:SCOPE_SYS
.LBB6_1805:
	s_wait_xcnt 0x0
	s_or_b32 exec_lo, exec_lo, s7
	s_wait_loadcnt 0x0
	global_load_b64 v[10:11], v[8:9], off offset:16
	s_wait_loadcnt 0x0
	v_cmp_eq_u64_e32 vcc_lo, 0, v[10:11]
	s_cbranch_vccnz .LBB6_1807
; %bb.1806:
	global_load_b32 v8, v[8:9], off offset:24
	s_wait_xcnt 0x0
	v_mov_b32_e32 v9, 0
	s_wait_loadcnt 0x0
	v_readfirstlane_b32 s7, v8
	global_wb scope:SCOPE_SYS
	s_wait_storecnt 0x0
	global_store_b64 v[10:11], v[8:9], off scope:SCOPE_SYS
	s_and_b32 m0, s7, 0xffffff
	s_sendmsg sendmsg(MSG_INTERRUPT)
.LBB6_1807:
	s_wait_xcnt 0x0
	s_or_b32 exec_lo, exec_lo, s6
	v_add_nc_u64_e32 v[8:9], v[16:17], v[6:7]
	s_branch .LBB6_1811
.LBB6_1808:                             ;   in Loop: Header=BB6_1811 Depth=1
	s_wait_xcnt 0x0
	s_or_b32 exec_lo, exec_lo, s6
	s_delay_alu instid0(VALU_DEP_1)
	v_readfirstlane_b32 s6, v5
	s_cmp_eq_u32 s6, 0
	s_cbranch_scc1 .LBB6_1810
; %bb.1809:                             ;   in Loop: Header=BB6_1811 Depth=1
	s_sleep 1
	s_cbranch_execnz .LBB6_1811
	s_branch .LBB6_1813
.LBB6_1810:
	s_branch .LBB6_1813
.LBB6_1811:                             ; =>This Inner Loop Header: Depth=1
	v_mov_b32_e32 v5, 1
	s_and_saveexec_b32 s6, s1
	s_cbranch_execz .LBB6_1808
; %bb.1812:                             ;   in Loop: Header=BB6_1811 Depth=1
	global_load_b32 v5, v[2:3], off offset:20 scope:SCOPE_SYS
	s_wait_loadcnt 0x0
	global_inv scope:SCOPE_SYS
	v_and_b32_e32 v5, 1, v5
	s_branch .LBB6_1808
.LBB6_1813:
	global_load_b64 v[2:3], v[8:9], off
	s_wait_xcnt 0x0
	s_and_saveexec_b32 s6, s1
	s_cbranch_execz .LBB6_1817
; %bb.1814:
	v_mov_b32_e32 v5, 0
	s_clause 0x2
	global_load_b64 v[8:9], v5, s[2:3] offset:40
	global_load_b64 v[16:17], v5, s[2:3] offset:24 scope:SCOPE_SYS
	global_load_b64 v[10:11], v5, s[2:3]
	s_wait_loadcnt 0x2
	v_readfirstlane_b32 s8, v8
	v_readfirstlane_b32 s9, v9
	s_add_nc_u64 s[10:11], s[8:9], 1
	s_delay_alu instid0(SALU_CYCLE_1) | instskip(NEXT) | instid1(SALU_CYCLE_1)
	s_add_nc_u64 s[4:5], s[10:11], s[4:5]
	s_cmp_eq_u64 s[4:5], 0
	s_cselect_b32 s5, s11, s5
	s_cselect_b32 s4, s10, s4
	v_mov_b32_e32 v15, s5
	s_and_b64 s[8:9], s[4:5], s[8:9]
	v_mov_b32_e32 v14, s4
	s_mul_u64 s[8:9], s[8:9], 24
	s_wait_loadcnt 0x0
	v_add_nc_u64_e32 v[12:13], s[8:9], v[10:11]
	global_store_b64 v[12:13], v[16:17], off
	global_wb scope:SCOPE_SYS
	s_wait_storecnt 0x0
	s_wait_xcnt 0x0
	global_atomic_cmpswap_b64 v[10:11], v5, v[14:17], s[2:3] offset:24 th:TH_ATOMIC_RETURN scope:SCOPE_SYS
	s_wait_loadcnt 0x0
	v_cmp_ne_u64_e32 vcc_lo, v[10:11], v[16:17]
	s_and_b32 exec_lo, exec_lo, vcc_lo
	s_cbranch_execz .LBB6_1817
; %bb.1815:
	s_mov_b32 s1, 0
.LBB6_1816:                             ; =>This Inner Loop Header: Depth=1
	v_dual_mov_b32 v8, s4 :: v_dual_mov_b32 v9, s5
	s_sleep 1
	global_store_b64 v[12:13], v[10:11], off
	global_wb scope:SCOPE_SYS
	s_wait_storecnt 0x0
	s_wait_xcnt 0x0
	global_atomic_cmpswap_b64 v[8:9], v5, v[8:11], s[2:3] offset:24 th:TH_ATOMIC_RETURN scope:SCOPE_SYS
	s_wait_loadcnt 0x0
	v_cmp_eq_u64_e32 vcc_lo, v[8:9], v[10:11]
	v_mov_b64_e32 v[10:11], v[8:9]
	s_or_b32 s1, vcc_lo, s1
	s_delay_alu instid0(SALU_CYCLE_1)
	s_and_not1_b32 exec_lo, exec_lo, s1
	s_cbranch_execnz .LBB6_1816
.LBB6_1817:
	s_or_b32 exec_lo, exec_lo, s6
	v_readfirstlane_b32 s1, v57
	v_mov_b64_e32 v[12:13], 0
	s_delay_alu instid0(VALU_DEP_2)
	v_cmp_eq_u32_e64 s1, s1, v57
	s_and_saveexec_b32 s4, s1
	s_cbranch_execz .LBB6_1823
; %bb.1818:
	v_mov_b32_e32 v5, 0
	s_mov_b32 s5, exec_lo
	global_load_b64 v[10:11], v5, s[2:3] offset:24 scope:SCOPE_SYS
	s_wait_loadcnt 0x0
	global_inv scope:SCOPE_SYS
	s_clause 0x1
	global_load_b64 v[8:9], v5, s[2:3] offset:40
	global_load_b64 v[12:13], v5, s[2:3]
	s_wait_loadcnt 0x1
	v_and_b32_e32 v8, v8, v10
	v_and_b32_e32 v9, v9, v11
	s_delay_alu instid0(VALU_DEP_1) | instskip(SKIP_1) | instid1(VALU_DEP_1)
	v_mul_u64_e32 v[8:9], 24, v[8:9]
	s_wait_loadcnt 0x0
	v_add_nc_u64_e32 v[8:9], v[12:13], v[8:9]
	global_load_b64 v[8:9], v[8:9], off scope:SCOPE_SYS
	s_wait_xcnt 0x0
	s_wait_loadcnt 0x0
	global_atomic_cmpswap_b64 v[12:13], v5, v[8:11], s[2:3] offset:24 th:TH_ATOMIC_RETURN scope:SCOPE_SYS
	s_wait_loadcnt 0x0
	global_inv scope:SCOPE_SYS
	s_wait_xcnt 0x0
	v_cmpx_ne_u64_e64 v[12:13], v[10:11]
	s_cbranch_execz .LBB6_1822
; %bb.1819:
	s_mov_b32 s6, 0
.LBB6_1820:                             ; =>This Inner Loop Header: Depth=1
	s_sleep 1
	s_clause 0x1
	global_load_b64 v[8:9], v5, s[2:3] offset:40
	global_load_b64 v[14:15], v5, s[2:3]
	v_mov_b64_e32 v[10:11], v[12:13]
	s_wait_loadcnt 0x1
	s_delay_alu instid0(VALU_DEP_1) | instskip(SKIP_1) | instid1(VALU_DEP_1)
	v_and_b32_e32 v7, v8, v10
	s_wait_loadcnt 0x0
	v_mad_nc_u64_u32 v[12:13], v7, 24, v[14:15]
	s_delay_alu instid0(VALU_DEP_3) | instskip(NEXT) | instid1(VALU_DEP_1)
	v_and_b32_e32 v7, v9, v11
	v_mad_u32 v13, v7, 24, v13
	global_load_b64 v[8:9], v[12:13], off scope:SCOPE_SYS
	s_wait_xcnt 0x0
	s_wait_loadcnt 0x0
	global_atomic_cmpswap_b64 v[12:13], v5, v[8:11], s[2:3] offset:24 th:TH_ATOMIC_RETURN scope:SCOPE_SYS
	s_wait_loadcnt 0x0
	global_inv scope:SCOPE_SYS
	v_cmp_eq_u64_e32 vcc_lo, v[12:13], v[10:11]
	s_or_b32 s6, vcc_lo, s6
	s_wait_xcnt 0x0
	s_and_not1_b32 exec_lo, exec_lo, s6
	s_cbranch_execnz .LBB6_1820
; %bb.1821:
	s_or_b32 exec_lo, exec_lo, s6
.LBB6_1822:
	s_delay_alu instid0(SALU_CYCLE_1)
	s_or_b32 exec_lo, exec_lo, s5
.LBB6_1823:
	s_delay_alu instid0(SALU_CYCLE_1)
	s_or_b32 exec_lo, exec_lo, s4
	v_readfirstlane_b32 s4, v12
	v_mov_b32_e32 v5, 0
	v_readfirstlane_b32 s5, v13
	s_mov_b32 s6, exec_lo
	s_clause 0x1
	global_load_b64 v[14:15], v5, s[2:3] offset:40
	global_load_b128 v[8:11], v5, s[2:3]
	s_wait_loadcnt 0x1
	v_and_b32_e32 v14, s4, v14
	v_and_b32_e32 v15, s5, v15
	s_delay_alu instid0(VALU_DEP_1) | instskip(SKIP_1) | instid1(VALU_DEP_1)
	v_mul_u64_e32 v[12:13], 24, v[14:15]
	s_wait_loadcnt 0x0
	v_add_nc_u64_e32 v[12:13], v[8:9], v[12:13]
	s_wait_xcnt 0x0
	s_and_saveexec_b32 s7, s1
	s_cbranch_execz .LBB6_1825
; %bb.1824:
	v_mov_b64_e32 v[18:19], 0x100000002
	v_dual_mov_b32 v16, s6 :: v_dual_mov_b32 v17, v5
	global_store_b128 v[12:13], v[16:19], off offset:8
.LBB6_1825:
	s_wait_xcnt 0x0
	s_or_b32 exec_lo, exec_lo, s7
	v_lshlrev_b64_e32 v[14:15], 12, v[14:15]
	s_mov_b32 s8, 0
	v_and_or_b32 v2, 0xffffff1d, v2, 34
	s_mov_b32 s10, s8
	s_mov_b32 s11, s8
	;; [unrolled: 1-line block ×3, first 2 shown]
	s_delay_alu instid0(VALU_DEP_2) | instskip(SKIP_2) | instid1(VALU_DEP_3)
	v_add_nc_u64_e32 v[10:11], v[10:11], v[14:15]
	v_mov_b64_e32 v[16:17], s[10:11]
	v_mov_b64_e32 v[14:15], s[8:9]
	v_readfirstlane_b32 s6, v10
	s_delay_alu instid0(VALU_DEP_4)
	v_readfirstlane_b32 s7, v11
	s_clause 0x3
	global_store_b128 v6, v[2:5], s[6:7]
	global_store_b128 v6, v[14:17], s[6:7] offset:16
	global_store_b128 v6, v[14:17], s[6:7] offset:32
	;; [unrolled: 1-line block ×3, first 2 shown]
	s_wait_xcnt 0x0
	s_and_saveexec_b32 s6, s1
	s_cbranch_execz .LBB6_1832
; %bb.1826:
	v_dual_mov_b32 v10, 0 :: v_dual_mov_b32 v15, s5
	s_mov_b32 s7, exec_lo
	s_clause 0x1
	global_load_b64 v[16:17], v10, s[2:3] offset:32 scope:SCOPE_SYS
	global_load_b64 v[2:3], v10, s[2:3] offset:40
	s_wait_loadcnt 0x0
	v_dual_mov_b32 v14, s4 :: v_dual_bitop2_b32 v3, s5, v3 bitop3:0x40
	v_and_b32_e32 v2, s4, v2
	s_delay_alu instid0(VALU_DEP_1) | instskip(NEXT) | instid1(VALU_DEP_1)
	v_mul_u64_e32 v[2:3], 24, v[2:3]
	v_add_nc_u64_e32 v[6:7], v[8:9], v[2:3]
	global_store_b64 v[6:7], v[16:17], off
	global_wb scope:SCOPE_SYS
	s_wait_storecnt 0x0
	s_wait_xcnt 0x0
	global_atomic_cmpswap_b64 v[4:5], v10, v[14:17], s[2:3] offset:32 th:TH_ATOMIC_RETURN scope:SCOPE_SYS
	s_wait_loadcnt 0x0
	v_cmpx_ne_u64_e64 v[4:5], v[16:17]
	s_cbranch_execz .LBB6_1828
.LBB6_1827:                             ; =>This Inner Loop Header: Depth=1
	v_dual_mov_b32 v2, s4 :: v_dual_mov_b32 v3, s5
	s_sleep 1
	global_store_b64 v[6:7], v[4:5], off
	global_wb scope:SCOPE_SYS
	s_wait_storecnt 0x0
	s_wait_xcnt 0x0
	global_atomic_cmpswap_b64 v[2:3], v10, v[2:5], s[2:3] offset:32 th:TH_ATOMIC_RETURN scope:SCOPE_SYS
	s_wait_loadcnt 0x0
	v_cmp_eq_u64_e32 vcc_lo, v[2:3], v[4:5]
	v_mov_b64_e32 v[4:5], v[2:3]
	s_or_b32 s8, vcc_lo, s8
	s_delay_alu instid0(SALU_CYCLE_1)
	s_and_not1_b32 exec_lo, exec_lo, s8
	s_cbranch_execnz .LBB6_1827
.LBB6_1828:
	s_or_b32 exec_lo, exec_lo, s7
	v_mov_b32_e32 v5, 0
	s_mov_b32 s8, exec_lo
	s_mov_b32 s7, exec_lo
	v_mbcnt_lo_u32_b32 v4, s8, 0
	global_load_b64 v[2:3], v5, s[2:3] offset:16
	s_wait_xcnt 0x0
	v_cmpx_eq_u32_e32 0, v4
	s_cbranch_execz .LBB6_1830
; %bb.1829:
	s_bcnt1_i32_b32 s8, s8
	s_delay_alu instid0(SALU_CYCLE_1)
	v_mov_b32_e32 v4, s8
	global_wb scope:SCOPE_SYS
	s_wait_loadcnt 0x0
	s_wait_storecnt 0x0
	global_atomic_add_u64 v[2:3], v[4:5], off offset:8 scope:SCOPE_SYS
.LBB6_1830:
	s_wait_xcnt 0x0
	s_or_b32 exec_lo, exec_lo, s7
	s_wait_loadcnt 0x0
	global_load_b64 v[4:5], v[2:3], off offset:16
	s_wait_loadcnt 0x0
	v_cmp_eq_u64_e32 vcc_lo, 0, v[4:5]
	s_cbranch_vccnz .LBB6_1832
; %bb.1831:
	global_load_b32 v2, v[2:3], off offset:24
	s_wait_xcnt 0x0
	v_mov_b32_e32 v3, 0
	s_wait_loadcnt 0x0
	v_readfirstlane_b32 s7, v2
	global_wb scope:SCOPE_SYS
	s_wait_storecnt 0x0
	global_store_b64 v[4:5], v[2:3], off scope:SCOPE_SYS
	s_and_b32 m0, s7, 0xffffff
	s_sendmsg sendmsg(MSG_INTERRUPT)
.LBB6_1832:
	s_wait_xcnt 0x0
	s_or_b32 exec_lo, exec_lo, s6
	s_branch .LBB6_1836
.LBB6_1833:                             ;   in Loop: Header=BB6_1836 Depth=1
	s_wait_xcnt 0x0
	s_or_b32 exec_lo, exec_lo, s6
	s_delay_alu instid0(VALU_DEP_1)
	v_readfirstlane_b32 s6, v2
	s_cmp_eq_u32 s6, 0
	s_cbranch_scc1 .LBB6_1835
; %bb.1834:                             ;   in Loop: Header=BB6_1836 Depth=1
	s_sleep 1
	s_cbranch_execnz .LBB6_1836
	s_branch .LBB6_1838
.LBB6_1835:
	s_branch .LBB6_1838
.LBB6_1836:                             ; =>This Inner Loop Header: Depth=1
	v_mov_b32_e32 v2, 1
	s_and_saveexec_b32 s6, s1
	s_cbranch_execz .LBB6_1833
; %bb.1837:                             ;   in Loop: Header=BB6_1836 Depth=1
	global_load_b32 v2, v[12:13], off offset:20 scope:SCOPE_SYS
	s_wait_loadcnt 0x0
	global_inv scope:SCOPE_SYS
	v_and_b32_e32 v2, 1, v2
	s_branch .LBB6_1833
.LBB6_1838:
	s_and_b32 exec_lo, exec_lo, s1
	s_cbranch_execz .LBB6_1842
; %bb.1839:
	v_mov_b32_e32 v8, 0
	s_clause 0x2
	global_load_b64 v[2:3], v8, s[2:3] offset:40
	global_load_b64 v[12:13], v8, s[2:3] offset:24 scope:SCOPE_SYS
	global_load_b64 v[4:5], v8, s[2:3]
	s_wait_loadcnt 0x2
	v_readfirstlane_b32 s6, v2
	v_readfirstlane_b32 s7, v3
	s_add_nc_u64 s[8:9], s[6:7], 1
	s_delay_alu instid0(SALU_CYCLE_1) | instskip(NEXT) | instid1(SALU_CYCLE_1)
	s_add_nc_u64 s[4:5], s[8:9], s[4:5]
	s_cmp_eq_u64 s[4:5], 0
	s_cselect_b32 s5, s9, s5
	s_cselect_b32 s4, s8, s4
	v_mov_b32_e32 v11, s5
	s_and_b64 s[6:7], s[4:5], s[6:7]
	v_mov_b32_e32 v10, s4
	s_mul_u64 s[6:7], s[6:7], 24
	s_wait_loadcnt 0x0
	v_add_nc_u64_e32 v[6:7], s[6:7], v[4:5]
	global_store_b64 v[6:7], v[12:13], off
	global_wb scope:SCOPE_SYS
	s_wait_storecnt 0x0
	s_wait_xcnt 0x0
	global_atomic_cmpswap_b64 v[4:5], v8, v[10:13], s[2:3] offset:24 th:TH_ATOMIC_RETURN scope:SCOPE_SYS
	s_wait_loadcnt 0x0
	v_cmp_ne_u64_e32 vcc_lo, v[4:5], v[12:13]
	s_and_b32 exec_lo, exec_lo, vcc_lo
	s_cbranch_execz .LBB6_1842
; %bb.1840:
	s_mov_b32 s1, 0
.LBB6_1841:                             ; =>This Inner Loop Header: Depth=1
	v_dual_mov_b32 v2, s4 :: v_dual_mov_b32 v3, s5
	s_sleep 1
	global_store_b64 v[6:7], v[4:5], off
	global_wb scope:SCOPE_SYS
	s_wait_storecnt 0x0
	s_wait_xcnt 0x0
	global_atomic_cmpswap_b64 v[2:3], v8, v[2:5], s[2:3] offset:24 th:TH_ATOMIC_RETURN scope:SCOPE_SYS
	s_wait_loadcnt 0x0
	v_cmp_eq_u64_e32 vcc_lo, v[2:3], v[4:5]
	v_mov_b64_e32 v[4:5], v[2:3]
	s_or_b32 s1, vcc_lo, s1
	s_delay_alu instid0(SALU_CYCLE_1)
	s_and_not1_b32 exec_lo, exec_lo, s1
	s_cbranch_execnz .LBB6_1841
.LBB6_1842:
	s_or_b32 exec_lo, exec_lo, s16
	v_or_b32_e32 v0, v0, v44
	s_xor_b32 s0, s0, -1
	s_mov_b32 s19, 0
                                        ; implicit-def: $vgpr44
	s_delay_alu instid0(VALU_DEP_1) | instskip(SKIP_1) | instid1(SALU_CYCLE_1)
	v_cmp_lt_i32_e32 vcc_lo, -1, v0
	s_and_b32 s0, vcc_lo, s0
	s_and_saveexec_b32 s1, s0
	s_delay_alu instid0(SALU_CYCLE_1)
	s_xor_b32 s0, exec_lo, s1
	s_cbranch_execz .LBB6_1844
; %bb.1843:
	flat_load_b32 v2, v[42:43]
	v_lshl_or_b32 v0, v38, 1, 1
	s_mov_b32 s19, exec_lo
	s_wait_loadcnt_dscnt 0x0
	v_dual_ashrrev_i32 v3, 31, v2 :: v_dual_add_nc_u32 v6, 1, v2
	v_lshl_or_b32 v44, v2, 1, 1
	s_delay_alu instid0(VALU_DEP_2)
	v_lshl_add_u64 v[4:5], v[2:3], 3, v[42:43]
	s_clause 0x1
	flat_store_b32 v[42:43], v6
	flat_store_b64 v[4:5], v[0:1] offset:8
.LBB6_1844:
	s_wait_xcnt 0x0
	s_or_saveexec_b32 s20, s0
	s_mov_b32 s0, s17
	s_xor_b32 exec_lo, exec_lo, s20
	s_cbranch_execz .LBB6_1846
; %bb.1845:
	s_get_pc_i64 s[0:1]
	s_add_nc_u64 s[0:1], s[0:1], .str.46@rel64+4
	s_get_pc_i64 s[2:3]
	s_add_nc_u64 s[2:3], s[2:3], .str.44@rel64+4
	s_get_pc_i64 s[4:5]
	s_add_nc_u64 s[4:5], s[4:5], __PRETTY_FUNCTION__._ZN8subgUtil18formAndNodeKeyFlagEiii@rel64+4
	v_dual_mov_b32 v0, s0 :: v_dual_mov_b32 v1, s1
	v_dual_mov_b32 v2, s2 :: v_dual_mov_b32 v3, s3
	;; [unrolled: 1-line block ×3, first 2 shown]
	v_mov_b32_e32 v6, s5
	s_get_pc_i64 s[6:7]
	s_add_nc_u64 s[6:7], s[6:7], __assert_fail@rel64+4
	s_mov_b64 s[8:9], s[52:53]
	s_swap_pc_i64 s[30:31], s[6:7]
	s_or_b32 s0, s17, exec_lo
.LBB6_1846:
	s_or_b32 exec_lo, exec_lo, s20
	s_delay_alu instid0(SALU_CYCLE_1)
	s_and_not1_b32 s1, s17, exec_lo
	s_and_b32 s0, s0, exec_lo
	s_and_b32 s48, s19, exec_lo
	s_or_b32 s17, s1, s0
.LBB6_1847:
	s_or_b32 exec_lo, exec_lo, s18
	s_delay_alu instid0(SALU_CYCLE_1) | instskip(SKIP_1) | instid1(SALU_CYCLE_1)
	s_and_not1_b32 s0, s36, exec_lo
	s_and_b32 s1, s17, exec_lo
	s_or_b32 s0, s0, s1
	s_or_not1_b32 s1, s48, exec_lo
.LBB6_1848:
	s_or_b32 exec_lo, exec_lo, s39
	s_delay_alu instid0(SALU_CYCLE_1)
	s_and_b32 s3, s0, exec_lo
	v_readlane_b32 s0, v73, 7
	s_and_not1_b32 s2, s36, exec_lo
	s_and_b32 s1, s1, exec_lo
	s_or_b32 s18, s2, s3
	s_and_not1_b32 s0, s0, exec_lo
	s_delay_alu instid0(SALU_CYCLE_1)
	s_or_b32 s17, s0, s1
.LBB6_1849:
	s_and_not1_saveexec_b32 s19, s38
	s_cbranch_execz .LBB6_1851
; %bb.1850:
	s_get_pc_i64 s[0:1]
	s_add_nc_u64 s[0:1], s[0:1], .str.46@rel64+4
	s_get_pc_i64 s[2:3]
	s_add_nc_u64 s[2:3], s[2:3], .str.44@rel64+4
	s_get_pc_i64 s[4:5]
	s_add_nc_u64 s[4:5], s[4:5], __PRETTY_FUNCTION__._ZN8subgUtil18formAndNodeKeyFlagEiii@rel64+4
	v_dual_mov_b32 v0, s0 :: v_dual_mov_b32 v1, s1
	v_dual_mov_b32 v2, s2 :: v_dual_mov_b32 v3, s3
	;; [unrolled: 1-line block ×3, first 2 shown]
	v_mov_b32_e32 v6, s5
	s_get_pc_i64 s[6:7]
	s_add_nc_u64 s[6:7], s[6:7], __assert_fail@rel64+4
	s_mov_b64 s[8:9], s[52:53]
	s_swap_pc_i64 s[30:31], s[6:7]
	s_or_b32 s18, s18, exec_lo
.LBB6_1851:
	s_or_b32 exec_lo, exec_lo, s19
	v_readlane_b32 s38, v73, 7
	s_and_not1_b32 s0, s36, exec_lo
	v_readlane_b32 s36, v73, 5
	s_and_b32 s1, s18, exec_lo
	s_and_b32 s3, s17, exec_lo
	s_and_not1_b32 s2, s38, exec_lo
	s_or_b32 s0, s0, s1
	s_or_b32 s1, s2, s3
.LBB6_1852:
	s_or_b32 exec_lo, exec_lo, s37
	s_delay_alu instid0(SALU_CYCLE_1)
	s_and_not1_b32 s2, s36, exec_lo
	s_and_b32 s0, s0, exec_lo
	s_and_not1_b32 s3, s38, exec_lo
	s_and_b32 s1, s1, exec_lo
	s_or_b32 s36, s2, s0
	s_or_b32 s38, s3, s1
	s_mov_b32 s28, s49
	s_mov_b32 s20, s67
	v_readlane_b32 s21, v73, 9
	v_readlane_b32 s22, v73, 8
	s_mov_b32 s18, s68
	v_readlane_b32 s25, v73, 6
	s_mov_b32 s26, s69
	;; [unrolled: 2-line block ×3, first 2 shown]
	s_mov_b32 s29, 0
	v_readlane_b32 s40, v73, 14
	v_readlane_b32 s41, v73, 1
	v_readlane_b32 s17, v73, 15
	v_readlane_b32 s42, v73, 2
	v_readlane_b32 s43, v73, 18
	v_readlane_b32 s23, v73, 11
	v_readlane_b32 s44, v73, 16
	v_readlane_b32 s24, v73, 12
	v_readlane_b32 s45, v73, 17
	v_readlane_b32 s1, v73, 0
	v_readlane_b32 s2, v73, 13
	v_readlane_b32 s0, v73, 10
.LBB6_1853:
	s_delay_alu instid0(VALU_DEP_1)
	s_or_b32 exec_lo, exec_lo, s0
	s_delay_alu instid0(VALU_DEP_3) | instid1(SALU_CYCLE_1)
	s_and_not1_b32 s0, s1, exec_lo
	s_and_b32 s1, s36, exec_lo
	s_delay_alu instid0(SALU_CYCLE_1)
	s_or_b32 s1, s0, s1
	s_and_b32 s0, s38, exec_lo
.LBB6_1854:
	s_or_b32 exec_lo, exec_lo, s2
	s_delay_alu instid0(SALU_CYCLE_1)
	s_and_not1_b32 s2, s24, exec_lo
	s_and_b32 s1, s1, exec_lo
	s_and_b32 s0, s0, exec_lo
	s_or_b32 s24, s2, s1
.LBB6_1855:
	s_or_b32 exec_lo, exec_lo, s45
	s_delay_alu instid0(SALU_CYCLE_1) | instskip(SKIP_1) | instid1(SALU_CYCLE_1)
	s_and_not1_b32 s1, s23, exec_lo
	s_and_b32 s2, s24, exec_lo
	s_or_b32 s23, s1, s2
	s_and_b32 s1, s0, exec_lo
.LBB6_1856:
	s_or_b32 exec_lo, exec_lo, s44
	s_delay_alu instid0(SALU_CYCLE_1)
	s_and_not1_b32 s0, s17, exec_lo
	s_and_b32 s2, s23, exec_lo
	s_and_b32 s23, s1, exec_lo
	s_or_b32 s24, s0, s2
.LBB6_1857:
	s_and_not1_saveexec_b32 s43, s43
	s_cbranch_execz .LBB6_1859
; %bb.1858:
	s_get_pc_i64 s[0:1]
	s_add_nc_u64 s[0:1], s[0:1], .str.39@rel64+4
	s_get_pc_i64 s[2:3]
	s_add_nc_u64 s[2:3], s[2:3], .str.31@rel64+4
	s_get_pc_i64 s[4:5]
	s_add_nc_u64 s[4:5], s[4:5], __PRETTY_FUNCTION__._ZN3sop17sopDivideInternalEPNS_3SopES1_S1_S1_P7VecsMemIjLi8192EE@rel64+4
	v_dual_mov_b32 v0, s0 :: v_dual_mov_b32 v1, s1
	v_dual_mov_b32 v2, s2 :: v_dual_mov_b32 v3, s3
	;; [unrolled: 1-line block ×3, first 2 shown]
	v_mov_b32_e32 v6, s5
	s_get_pc_i64 s[6:7]
	s_add_nc_u64 s[6:7], s[6:7], __assert_fail@rel64+4
	s_mov_b64 s[8:9], s[52:53]
	s_swap_pc_i64 s[30:31], s[6:7]
	s_or_b32 s24, s24, exec_lo
.LBB6_1859:
	s_or_b32 exec_lo, exec_lo, s43
	s_delay_alu instid0(SALU_CYCLE_1) | instskip(SKIP_1) | instid1(SALU_CYCLE_1)
	s_and_not1_b32 s0, s17, exec_lo
	s_and_b32 s1, s24, exec_lo
	s_or_b32 s17, s0, s1
	s_and_b32 s1, s23, exec_lo
.LBB6_1860:
	s_or_b32 exec_lo, exec_lo, s42
	s_delay_alu instid0(SALU_CYCLE_1)
	s_and_not1_b32 s0, s19, exec_lo
	s_and_b32 s2, s17, exec_lo
	s_and_b32 s17, s1, exec_lo
	s_or_b32 s23, s0, s2
.LBB6_1861:
	s_and_not1_saveexec_b32 s24, s41
	s_cbranch_execz .LBB6_1863
; %bb.1862:
	s_get_pc_i64 s[0:1]
	s_add_nc_u64 s[0:1], s[0:1], .str.38@rel64+4
	s_get_pc_i64 s[2:3]
	s_add_nc_u64 s[2:3], s[2:3], .str.31@rel64+4
	s_get_pc_i64 s[4:5]
	s_add_nc_u64 s[4:5], s[4:5], __PRETTY_FUNCTION__._ZN3sop17sopDivideInternalEPNS_3SopES1_S1_S1_P7VecsMemIjLi8192EE@rel64+4
	v_dual_mov_b32 v0, s0 :: v_dual_mov_b32 v1, s1
	v_dual_mov_b32 v2, s2 :: v_dual_mov_b32 v3, s3
	;; [unrolled: 1-line block ×3, first 2 shown]
	v_mov_b32_e32 v6, s5
	s_get_pc_i64 s[6:7]
	s_add_nc_u64 s[6:7], s[6:7], __assert_fail@rel64+4
	s_mov_b64 s[8:9], s[52:53]
	s_swap_pc_i64 s[30:31], s[6:7]
	s_or_b32 s23, s23, exec_lo
.LBB6_1863:
	s_or_b32 exec_lo, exec_lo, s24
	s_delay_alu instid0(SALU_CYCLE_1)
	s_and_not1_b32 s0, s19, exec_lo
	s_and_b32 s1, s23, exec_lo
	s_and_b32 s24, s17, exec_lo
	s_or_b32 s23, s0, s1
                                        ; implicit-def: $vgpr60_vgpr61
                                        ; implicit-def: $vgpr64_vgpr65
                                        ; implicit-def: $vgpr41
                                        ; implicit-def: $vgpr42_vgpr43
                                        ; implicit-def: $vgpr68_vgpr69
                                        ; implicit-def: $vgpr58
                                        ; implicit-def: $vgpr66_vgpr67
.LBB6_1864:
	s_or_saveexec_b32 s40, s40
	s_mov_b32 s41, 0
	s_xor_b32 exec_lo, exec_lo, s40
	s_cbranch_execz .LBB6_2398
; %bb.1865:
	v_mov_b32_e32 v2, -1
	s_and_saveexec_b32 s4, s28
	s_cbranch_execz .LBB6_1881
; %bb.1866:
	flat_load_b32 v4, v[68:69]
	s_wait_loadcnt_dscnt 0x101
	v_and_b32_e32 v5, 0x7ffffffe, v58
	v_cmp_ne_u32_e64 s0, 1, v58
	v_dual_mov_b32 v6, -1 :: v_dual_mov_b32 v1, 0
	v_mov_b32_e32 v7, -1
	s_delay_alu instid0(VALU_DEP_4)
	v_cmp_ne_u32_e64 s1, v58, v5
	s_mov_b32 s5, 0
	s_mov_b32 s6, 0
	v_cmp_lt_i32_e32 vcc_lo, 0, v58
	s_branch .LBB6_1870
.LBB6_1867:                             ;   in Loop: Header=BB6_1870 Depth=1
	s_or_b32 exec_lo, exec_lo, s8
.LBB6_1868:                             ;   in Loop: Header=BB6_1870 Depth=1
	s_delay_alu instid0(SALU_CYCLE_1) | instskip(NEXT) | instid1(VALU_DEP_1)
	s_or_b32 exec_lo, exec_lo, s3
	v_cmp_lt_u32_e64 s2, 1, v8
	v_cmp_lt_i32_e64 s3, v6, v8
	s_and_b32 s2, s2, s3
	s_delay_alu instid0(SALU_CYCLE_1)
	v_cndmask_b32_e64 v7, v7, s6, s2
	v_cndmask_b32_e64 v6, v6, v8, s2
.LBB6_1869:                             ;   in Loop: Header=BB6_1870 Depth=1
	s_or_b32 exec_lo, exec_lo, s7
	s_add_co_i32 s6, s6, 1
	s_delay_alu instid0(SALU_CYCLE_1) | instskip(SKIP_1) | instid1(SALU_CYCLE_1)
	v_cmp_eq_u32_e64 s2, s6, v41
	s_or_b32 s5, s2, s5
	s_and_not1_b32 exec_lo, exec_lo, s5
	s_cbranch_execz .LBB6_1880
.LBB6_1870:                             ; =>This Loop Header: Depth=1
                                        ;     Child Loop BB6_1874 Depth 2
                                        ;     Child Loop BB6_1878 Depth 2
	s_wait_loadcnt_dscnt 0x0
	v_lshrrev_b32_e32 v0, s6, v4
	s_mov_b32 s7, exec_lo
	s_delay_alu instid0(VALU_DEP_1) | instskip(SKIP_1) | instid1(VALU_DEP_1)
	v_and_b32_e32 v0, 1, v0
	s_wait_xcnt 0x0
	v_cmpx_eq_u32_e32 1, v0
	s_cbranch_execz .LBB6_1869
; %bb.1871:                             ;   in Loop: Header=BB6_1870 Depth=1
	v_mov_b32_e32 v8, 0
	s_and_saveexec_b32 s3, vcc_lo
	s_cbranch_execz .LBB6_1868
; %bb.1872:                             ;   in Loop: Header=BB6_1870 Depth=1
	v_dual_mov_b32 v0, 0 :: v_dual_mov_b32 v8, 0
	s_mov_b32 s2, -1
	s_and_saveexec_b32 s8, s0
	s_cbranch_execz .LBB6_1876
; %bb.1873:                             ;   in Loop: Header=BB6_1870 Depth=1
	v_mov_b64_e32 v[2:3], v[66:67]
	v_dual_mov_b32 v0, 0 :: v_dual_mov_b32 v8, 0
	v_mov_b32_e32 v9, v5
	s_mov_b32 s10, s6
	s_mov_b32 s9, 0
.LBB6_1874:                             ;   Parent Loop BB6_1870 Depth=1
                                        ; =>  This Inner Loop Header: Depth=2
	flat_load_b64 v[10:11], v[2:3]
	s_wait_xcnt 0x0
	v_add_nc_u64_e32 v[2:3], 8, v[2:3]
	s_wait_loadcnt_dscnt 0x0
	v_dual_lshrrev_b32 v11, s10, v11 :: v_dual_lshrrev_b32 v10, s6, v10
	s_delay_alu instid0(VALU_DEP_1) | instskip(NEXT) | instid1(VALU_DEP_2)
	v_dual_add_nc_u32 v9, -2, v9 :: v_dual_bitop2_b32 v11, 1, v11 bitop3:0x40
	v_and_b32_e32 v10, 1, v10
	s_delay_alu instid0(VALU_DEP_2) | instskip(NEXT) | instid1(VALU_DEP_3)
	v_cmp_eq_u32_e64 s2, 0, v9
	v_add_nc_u32_e32 v8, v11, v8
	s_delay_alu instid0(VALU_DEP_3) | instskip(SKIP_1) | instid1(SALU_CYCLE_1)
	v_add_nc_u32_e32 v0, v10, v0
	s_or_b32 s9, s2, s9
	s_and_not1_b32 exec_lo, exec_lo, s9
	s_cbranch_execnz .LBB6_1874
; %bb.1875:                             ;   in Loop: Header=BB6_1870 Depth=1
	s_or_b32 exec_lo, exec_lo, s9
	v_dual_add_nc_u32 v8, v0, v8 :: v_dual_mov_b32 v0, v5
	s_or_not1_b32 s2, s1, exec_lo
.LBB6_1876:                             ;   in Loop: Header=BB6_1870 Depth=1
	s_or_b32 exec_lo, exec_lo, s8
	s_and_saveexec_b32 s8, s2
	s_cbranch_execz .LBB6_1867
; %bb.1877:                             ;   in Loop: Header=BB6_1870 Depth=1
	v_sub_nc_u32_e32 v9, v58, v0
	v_lshl_add_u64 v[2:3], v[0:1], 2, v[66:67]
	s_mov_b32 s9, 0
.LBB6_1878:                             ;   Parent Loop BB6_1870 Depth=1
                                        ; =>  This Inner Loop Header: Depth=2
	flat_load_b32 v0, v[2:3]
	s_wait_xcnt 0x0
	v_add_nc_u64_e32 v[2:3], 4, v[2:3]
	s_wait_loadcnt_dscnt 0x0
	v_bfe_u32 v0, v0, s6, 1
	s_delay_alu instid0(VALU_DEP_1) | instskip(NEXT) | instid1(VALU_DEP_1)
	v_dual_add_nc_u32 v9, -1, v9 :: v_dual_add_nc_u32 v8, v0, v8
	v_cmp_eq_u32_e64 s2, 0, v9
	s_or_b32 s9, s2, s9
	s_delay_alu instid0(SALU_CYCLE_1)
	s_and_not1_b32 exec_lo, exec_lo, s9
	s_cbranch_execnz .LBB6_1878
; %bb.1879:                             ;   in Loop: Header=BB6_1870 Depth=1
	s_or_b32 exec_lo, exec_lo, s9
	s_branch .LBB6_1867
.LBB6_1880:
	s_or_b32 exec_lo, exec_lo, s5
	v_cmp_lt_i32_e32 vcc_lo, -1, v6
	v_cndmask_b32_e32 v2, -1, v7, vcc_lo
.LBB6_1881:
	s_or_b32 exec_lo, exec_lo, s4
	flat_load_b32 v0, v[60:61]
	s_mov_b32 s0, 0
	s_mov_b32 s1, -1
	s_mov_b32 s2, s24
	s_mov_b32 s3, s23
	s_mov_b32 s49, exec_lo
                                        ; implicit-def: $vgpr44
	s_wait_loadcnt_dscnt 0x0
	v_cmpx_gt_i32_e32 0x2000, v0
	s_cbranch_execz .LBB6_2397
; %bb.1882:
	v_dual_ashrrev_i32 v1, 31, v0 :: v_dual_add_nc_u32 v3, 1, v0
	v_lshlrev_b32_e64 v55, v2, 1
	v_mov_b64_e32 v[70:71], 0
	s_mov_b32 s67, s23
	s_delay_alu instid0(VALU_DEP_3)
	v_lshl_add_u64 v[68:69], v[0:1], 2, v[60:61]
	v_mov_b32_e32 v0, 0
	s_clause 0x1
	flat_store_b32 v[60:61], v3
	flat_store_b32 v[68:69], v55 offset:4
	flat_load_b32 v80, v[64:65] offset:4
	scratch_store_b32 off, v0, s33 offset:100
	s_wait_loadcnt_dscnt 0x0
	v_cmp_lt_i32_e64 s17, 0, v80
	s_wait_xcnt 0x0
	s_and_saveexec_b32 s28, s17
	s_cbranch_execz .LBB6_2029
; %bb.1883:
	flat_load_b32 v0, v[60:61]
	v_mov_b64_e32 v[70:71], 0
	s_mov_b32 s29, 0
	s_mov_b32 s0, exec_lo
	s_wait_loadcnt_dscnt 0x0
	v_add_nc_u32_e32 v0, v0, v80
	s_wait_xcnt 0x0
	s_delay_alu instid0(VALU_DEP_1)
	v_cmpx_gt_i32_e32 0x2001, v0
	s_xor_b32 s0, exec_lo, s0
	s_cbranch_execz .LBB6_1885
; %bb.1884:
	v_dual_mov_b32 v81, 0 :: v_dual_ashrrev_i32 v1, 31, v0
	s_mov_b32 s29, exec_lo
	flat_store_b32 v[60:61], v0
	v_lshlrev_b64_e32 v[2:3], 2, v[80:81]
	v_lshl_add_u64 v[4:5], v[0:1], 2, v[60:61]
	s_delay_alu instid0(VALU_DEP_1) | instskip(NEXT) | instid1(VALU_DEP_1)
	v_sub_nc_u64_e32 v[2:3], v[4:5], v[2:3]
	v_add_nc_u64_e32 v[70:71], 4, v[2:3]
.LBB6_1885:
	s_wait_xcnt 0x0
	s_or_saveexec_b32 s41, s0
	s_mov_b32 s0, s23
	s_xor_b32 exec_lo, exec_lo, s41
	s_cbranch_execz .LBB6_2028
; %bb.1886:
	s_load_b64 s[2:3], s[52:53], 0x50
	v_mbcnt_lo_u32_b32 v32, -1, 0
	v_mov_b64_e32 v[2:3], 0
	s_delay_alu instid0(VALU_DEP_2) | instskip(NEXT) | instid1(VALU_DEP_1)
	v_readfirstlane_b32 s0, v32
	v_cmp_eq_u32_e64 s0, s0, v32
	s_and_saveexec_b32 s1, s0
	s_cbranch_execz .LBB6_1892
; %bb.1887:
	v_mov_b32_e32 v0, 0
	s_mov_b32 s4, exec_lo
	s_wait_kmcnt 0x0
	global_load_b64 v[4:5], v0, s[2:3] offset:24 scope:SCOPE_SYS
	s_wait_loadcnt 0x0
	global_inv scope:SCOPE_SYS
	s_clause 0x1
	global_load_b64 v[2:3], v0, s[2:3] offset:40
	global_load_b64 v[6:7], v0, s[2:3]
	s_wait_loadcnt 0x1
	v_and_b32_e32 v2, v2, v4
	v_and_b32_e32 v3, v3, v5
	s_delay_alu instid0(VALU_DEP_1) | instskip(SKIP_1) | instid1(VALU_DEP_1)
	v_mul_u64_e32 v[2:3], 24, v[2:3]
	s_wait_loadcnt 0x0
	v_add_nc_u64_e32 v[2:3], v[6:7], v[2:3]
	global_load_b64 v[2:3], v[2:3], off scope:SCOPE_SYS
	s_wait_xcnt 0x0
	s_wait_loadcnt 0x0
	global_atomic_cmpswap_b64 v[2:3], v0, v[2:5], s[2:3] offset:24 th:TH_ATOMIC_RETURN scope:SCOPE_SYS
	s_wait_loadcnt 0x0
	global_inv scope:SCOPE_SYS
	s_wait_xcnt 0x0
	v_cmpx_ne_u64_e64 v[2:3], v[4:5]
	s_cbranch_execz .LBB6_1891
; %bb.1888:
	s_mov_b32 s5, 0
.LBB6_1889:                             ; =>This Inner Loop Header: Depth=1
	s_sleep 1
	s_clause 0x1
	global_load_b64 v[6:7], v0, s[2:3] offset:40
	global_load_b64 v[8:9], v0, s[2:3]
	v_mov_b64_e32 v[4:5], v[2:3]
	s_wait_loadcnt 0x1
	s_delay_alu instid0(VALU_DEP_1) | instskip(SKIP_1) | instid1(VALU_DEP_1)
	v_and_b32_e32 v1, v6, v4
	s_wait_loadcnt 0x0
	v_mad_nc_u64_u32 v[2:3], v1, 24, v[8:9]
	s_delay_alu instid0(VALU_DEP_3) | instskip(NEXT) | instid1(VALU_DEP_1)
	v_and_b32_e32 v1, v7, v5
	v_mad_u32 v3, v1, 24, v3
	global_load_b64 v[2:3], v[2:3], off scope:SCOPE_SYS
	s_wait_xcnt 0x0
	s_wait_loadcnt 0x0
	global_atomic_cmpswap_b64 v[2:3], v0, v[2:5], s[2:3] offset:24 th:TH_ATOMIC_RETURN scope:SCOPE_SYS
	s_wait_loadcnt 0x0
	global_inv scope:SCOPE_SYS
	v_cmp_eq_u64_e32 vcc_lo, v[2:3], v[4:5]
	s_or_b32 s5, vcc_lo, s5
	s_wait_xcnt 0x0
	s_and_not1_b32 exec_lo, exec_lo, s5
	s_cbranch_execnz .LBB6_1889
; %bb.1890:
	s_or_b32 exec_lo, exec_lo, s5
.LBB6_1891:
	s_delay_alu instid0(SALU_CYCLE_1)
	s_or_b32 exec_lo, exec_lo, s4
.LBB6_1892:
	s_delay_alu instid0(SALU_CYCLE_1)
	s_or_b32 exec_lo, exec_lo, s1
	v_readfirstlane_b32 s4, v2
	v_mov_b32_e32 v1, 0
	v_readfirstlane_b32 s5, v3
	s_mov_b32 s1, exec_lo
	s_wait_kmcnt 0x0
	s_clause 0x1
	global_load_b64 v[8:9], v1, s[2:3] offset:40
	global_load_b128 v[4:7], v1, s[2:3]
	s_wait_loadcnt 0x1
	v_and_b32_e32 v10, s4, v8
	v_and_b32_e32 v11, s5, v9
	s_delay_alu instid0(VALU_DEP_1) | instskip(SKIP_1) | instid1(VALU_DEP_1)
	v_mul_u64_e32 v[2:3], 24, v[10:11]
	s_wait_loadcnt 0x0
	v_add_nc_u64_e32 v[8:9], v[4:5], v[2:3]
	s_wait_xcnt 0x0
	s_and_saveexec_b32 s6, s0
	s_cbranch_execz .LBB6_1894
; %bb.1893:
	v_mov_b64_e32 v[2:3], 0x100000002
	v_mov_b32_e32 v0, s1
	global_store_b128 v[8:9], v[0:3], off offset:8
.LBB6_1894:
	s_wait_xcnt 0x0
	s_or_b32 exec_lo, exec_lo, s6
	v_lshlrev_b64_e32 v[2:3], 12, v[10:11]
	s_mov_b32 s8, 0
	v_dual_lshlrev_b32 v0, 6, v32 :: v_dual_mov_b32 v10, 33
	s_mov_b32 s10, s8
	s_mov_b32 s11, s8
	;; [unrolled: 1-line block ×3, first 2 shown]
	s_delay_alu instid0(VALU_DEP_2)
	v_add_nc_u64_e32 v[6:7], v[6:7], v[2:3]
	v_mov_b64_e32 v[16:17], s[10:11]
	v_mov_b64_e32 v[14:15], s[8:9]
	v_dual_mov_b32 v11, v1 :: v_dual_mov_b32 v12, v1
	v_mov_b32_e32 v13, v1
	v_readfirstlane_b32 s6, v6
	v_readfirstlane_b32 s7, v7
	s_clause 0x3
	global_store_b128 v0, v[10:13], s[6:7]
	global_store_b128 v0, v[14:17], s[6:7] offset:16
	global_store_b128 v0, v[14:17], s[6:7] offset:32
	;; [unrolled: 1-line block ×3, first 2 shown]
	s_wait_xcnt 0x0
	s_and_saveexec_b32 s1, s0
	s_cbranch_execz .LBB6_1902
; %bb.1895:
	v_dual_mov_b32 v12, 0 :: v_dual_mov_b32 v15, s5
	s_mov_b32 s6, exec_lo
	s_clause 0x1
	global_load_b64 v[16:17], v12, s[2:3] offset:32 scope:SCOPE_SYS
	global_load_b64 v[2:3], v12, s[2:3] offset:40
	s_wait_loadcnt 0x0
	v_dual_mov_b32 v14, s4 :: v_dual_bitop2_b32 v3, s5, v3 bitop3:0x40
	v_and_b32_e32 v2, s4, v2
	s_delay_alu instid0(VALU_DEP_1) | instskip(NEXT) | instid1(VALU_DEP_1)
	v_mul_u64_e32 v[2:3], 24, v[2:3]
	v_add_nc_u64_e32 v[10:11], v[4:5], v[2:3]
	global_store_b64 v[10:11], v[16:17], off
	global_wb scope:SCOPE_SYS
	s_wait_storecnt 0x0
	s_wait_xcnt 0x0
	global_atomic_cmpswap_b64 v[4:5], v12, v[14:17], s[2:3] offset:32 th:TH_ATOMIC_RETURN scope:SCOPE_SYS
	s_wait_loadcnt 0x0
	v_cmpx_ne_u64_e64 v[4:5], v[16:17]
	s_cbranch_execz .LBB6_1898
; %bb.1896:
	s_mov_b32 s7, 0
.LBB6_1897:                             ; =>This Inner Loop Header: Depth=1
	v_dual_mov_b32 v2, s4 :: v_dual_mov_b32 v3, s5
	s_sleep 1
	global_store_b64 v[10:11], v[4:5], off
	global_wb scope:SCOPE_SYS
	s_wait_storecnt 0x0
	s_wait_xcnt 0x0
	global_atomic_cmpswap_b64 v[2:3], v12, v[2:5], s[2:3] offset:32 th:TH_ATOMIC_RETURN scope:SCOPE_SYS
	s_wait_loadcnt 0x0
	v_cmp_eq_u64_e32 vcc_lo, v[2:3], v[4:5]
	v_mov_b64_e32 v[4:5], v[2:3]
	s_or_b32 s7, vcc_lo, s7
	s_delay_alu instid0(SALU_CYCLE_1)
	s_and_not1_b32 exec_lo, exec_lo, s7
	s_cbranch_execnz .LBB6_1897
.LBB6_1898:
	s_or_b32 exec_lo, exec_lo, s6
	v_mov_b32_e32 v5, 0
	s_mov_b32 s7, exec_lo
	s_mov_b32 s6, exec_lo
	v_mbcnt_lo_u32_b32 v4, s7, 0
	global_load_b64 v[2:3], v5, s[2:3] offset:16
	s_wait_xcnt 0x0
	v_cmpx_eq_u32_e32 0, v4
	s_cbranch_execz .LBB6_1900
; %bb.1899:
	s_bcnt1_i32_b32 s7, s7
	s_delay_alu instid0(SALU_CYCLE_1)
	v_mov_b32_e32 v4, s7
	global_wb scope:SCOPE_SYS
	s_wait_loadcnt 0x0
	s_wait_storecnt 0x0
	global_atomic_add_u64 v[2:3], v[4:5], off offset:8 scope:SCOPE_SYS
.LBB6_1900:
	s_wait_xcnt 0x0
	s_or_b32 exec_lo, exec_lo, s6
	s_wait_loadcnt 0x0
	global_load_b64 v[4:5], v[2:3], off offset:16
	s_wait_loadcnt 0x0
	v_cmp_eq_u64_e32 vcc_lo, 0, v[4:5]
	s_cbranch_vccnz .LBB6_1902
; %bb.1901:
	global_load_b32 v2, v[2:3], off offset:24
	s_wait_xcnt 0x0
	v_mov_b32_e32 v3, 0
	s_wait_loadcnt 0x0
	v_readfirstlane_b32 s6, v2
	global_wb scope:SCOPE_SYS
	s_wait_storecnt 0x0
	global_store_b64 v[4:5], v[2:3], off scope:SCOPE_SYS
	s_and_b32 m0, s6, 0xffffff
	s_sendmsg sendmsg(MSG_INTERRUPT)
.LBB6_1902:
	s_wait_xcnt 0x0
	s_or_b32 exec_lo, exec_lo, s1
	v_add_nc_u64_e32 v[2:3], v[6:7], v[0:1]
	s_branch .LBB6_1906
.LBB6_1903:                             ;   in Loop: Header=BB6_1906 Depth=1
	s_wait_xcnt 0x0
	s_or_b32 exec_lo, exec_lo, s1
	s_delay_alu instid0(VALU_DEP_1)
	v_readfirstlane_b32 s1, v1
	s_cmp_eq_u32 s1, 0
	s_cbranch_scc1 .LBB6_1905
; %bb.1904:                             ;   in Loop: Header=BB6_1906 Depth=1
	s_sleep 1
	s_cbranch_execnz .LBB6_1906
	s_branch .LBB6_1908
.LBB6_1905:
	s_branch .LBB6_1908
.LBB6_1906:                             ; =>This Inner Loop Header: Depth=1
	v_mov_b32_e32 v1, 1
	s_and_saveexec_b32 s1, s0
	s_cbranch_execz .LBB6_1903
; %bb.1907:                             ;   in Loop: Header=BB6_1906 Depth=1
	global_load_b32 v1, v[8:9], off offset:20 scope:SCOPE_SYS
	s_wait_loadcnt 0x0
	global_inv scope:SCOPE_SYS
	v_and_b32_e32 v1, 1, v1
	s_branch .LBB6_1903
.LBB6_1908:
	global_load_b64 v[2:3], v[2:3], off
	s_wait_xcnt 0x0
	s_and_saveexec_b32 s6, s0
	s_cbranch_execz .LBB6_1912
; %bb.1909:
	v_mov_b32_e32 v1, 0
	s_clause 0x2
	global_load_b64 v[4:5], v1, s[2:3] offset:40
	global_load_b64 v[12:13], v1, s[2:3] offset:24 scope:SCOPE_SYS
	global_load_b64 v[6:7], v1, s[2:3]
	s_wait_loadcnt 0x2
	v_readfirstlane_b32 s8, v4
	v_readfirstlane_b32 s9, v5
	s_add_nc_u64 s[0:1], s[8:9], 1
	s_delay_alu instid0(SALU_CYCLE_1) | instskip(NEXT) | instid1(SALU_CYCLE_1)
	s_add_nc_u64 s[4:5], s[0:1], s[4:5]
	s_cmp_eq_u64 s[4:5], 0
	s_cselect_b32 s1, s1, s5
	s_cselect_b32 s0, s0, s4
	v_mov_b32_e32 v11, s1
	s_and_b64 s[4:5], s[0:1], s[8:9]
	v_mov_b32_e32 v10, s0
	s_mul_u64 s[4:5], s[4:5], 24
	s_wait_loadcnt 0x0
	v_add_nc_u64_e32 v[8:9], s[4:5], v[6:7]
	global_store_b64 v[8:9], v[12:13], off
	global_wb scope:SCOPE_SYS
	s_wait_storecnt 0x0
	s_wait_xcnt 0x0
	global_atomic_cmpswap_b64 v[6:7], v1, v[10:13], s[2:3] offset:24 th:TH_ATOMIC_RETURN scope:SCOPE_SYS
	s_wait_loadcnt 0x0
	v_cmp_ne_u64_e32 vcc_lo, v[6:7], v[12:13]
	s_and_b32 exec_lo, exec_lo, vcc_lo
	s_cbranch_execz .LBB6_1912
; %bb.1910:
	s_mov_b32 s4, 0
.LBB6_1911:                             ; =>This Inner Loop Header: Depth=1
	v_dual_mov_b32 v4, s0 :: v_dual_mov_b32 v5, s1
	s_sleep 1
	global_store_b64 v[8:9], v[6:7], off
	global_wb scope:SCOPE_SYS
	s_wait_storecnt 0x0
	s_wait_xcnt 0x0
	global_atomic_cmpswap_b64 v[4:5], v1, v[4:7], s[2:3] offset:24 th:TH_ATOMIC_RETURN scope:SCOPE_SYS
	s_wait_loadcnt 0x0
	v_cmp_eq_u64_e32 vcc_lo, v[4:5], v[6:7]
	v_mov_b64_e32 v[6:7], v[4:5]
	s_or_b32 s4, vcc_lo, s4
	s_delay_alu instid0(SALU_CYCLE_1)
	s_and_not1_b32 exec_lo, exec_lo, s4
	s_cbranch_execnz .LBB6_1911
.LBB6_1912:
	s_or_b32 exec_lo, exec_lo, s6
	s_get_pc_i64 s[4:5]
	s_add_nc_u64 s[4:5], s[4:5], .str.28@rel64+4
	s_delay_alu instid0(SALU_CYCLE_1)
	s_cmp_lg_u64 s[4:5], 0
	s_cbranch_scc0 .LBB6_1998
; %bb.1913:
	v_mov_b64_e32 v[6:7], 0x100000002
	s_wait_loadcnt 0x0
	v_dual_mov_b32 v9, v3 :: v_dual_bitop2_b32 v8, -3, v2 bitop3:0x40
	v_mov_b32_e32 v5, 0
	s_mov_b64 s[6:7], 35
	s_branch .LBB6_1915
.LBB6_1914:                             ;   in Loop: Header=BB6_1915 Depth=1
	s_or_b32 exec_lo, exec_lo, s12
	s_sub_nc_u64 s[6:7], s[6:7], s[8:9]
	s_add_nc_u64 s[4:5], s[4:5], s[8:9]
	s_cmp_lg_u64 s[6:7], 0
	s_cbranch_scc0 .LBB6_1997
.LBB6_1915:                             ; =>This Loop Header: Depth=1
                                        ;     Child Loop BB6_1918 Depth 2
                                        ;     Child Loop BB6_1926 Depth 2
	;; [unrolled: 1-line block ×11, first 2 shown]
	s_wait_loadcnt 0x0
	v_min_u64 v[10:11], s[6:7], 56
	v_cmp_gt_u64_e64 s0, s[6:7], 7
	s_and_b32 vcc_lo, exec_lo, s0
	v_readfirstlane_b32 s8, v10
	v_readfirstlane_b32 s9, v11
	s_cbranch_vccnz .LBB6_1920
; %bb.1916:                             ;   in Loop: Header=BB6_1915 Depth=1
	v_mov_b64_e32 v[10:11], 0
	s_cmp_eq_u64 s[6:7], 0
	s_cbranch_scc1 .LBB6_1919
; %bb.1917:                             ;   in Loop: Header=BB6_1915 Depth=1
	s_mov_b64 s[0:1], 0
	s_mov_b64 s[10:11], 0
.LBB6_1918:                             ;   Parent Loop BB6_1915 Depth=1
                                        ; =>  This Inner Loop Header: Depth=2
	s_wait_xcnt 0x0
	s_add_nc_u64 s[12:13], s[4:5], s[10:11]
	s_add_nc_u64 s[10:11], s[10:11], 1
	global_load_u8 v1, v5, s[12:13]
	s_cmp_lg_u32 s8, s10
	s_wait_loadcnt 0x0
	v_and_b32_e32 v4, 0xffff, v1
	s_delay_alu instid0(VALU_DEP_1) | instskip(SKIP_1) | instid1(VALU_DEP_1)
	v_lshlrev_b64_e32 v[12:13], s0, v[4:5]
	s_add_nc_u64 s[0:1], s[0:1], 8
	v_or_b32_e32 v10, v12, v10
	s_delay_alu instid0(VALU_DEP_2)
	v_or_b32_e32 v11, v13, v11
	s_cbranch_scc1 .LBB6_1918
.LBB6_1919:                             ;   in Loop: Header=BB6_1915 Depth=1
	s_mov_b32 s0, 0
	s_mov_b64 s[10:11], s[4:5]
	s_branch .LBB6_1921
.LBB6_1920:                             ;   in Loop: Header=BB6_1915 Depth=1
	s_add_nc_u64 s[10:11], s[4:5], 8
	s_mov_b32 s0, -1
.LBB6_1921:                             ;   in Loop: Header=BB6_1915 Depth=1
	s_delay_alu instid0(SALU_CYCLE_1)
	s_and_not1_b32 vcc_lo, exec_lo, s0
	s_mov_b32 s14, 0
	s_cbranch_vccnz .LBB6_1923
; %bb.1922:                             ;   in Loop: Header=BB6_1915 Depth=1
	global_load_b64 v[10:11], v5, s[4:5]
	s_add_co_i32 s14, s8, -8
.LBB6_1923:                             ;   in Loop: Header=BB6_1915 Depth=1
	s_delay_alu instid0(SALU_CYCLE_1)
	s_cmp_gt_u32 s14, 7
	s_cbranch_scc1 .LBB6_1928
; %bb.1924:                             ;   in Loop: Header=BB6_1915 Depth=1
	v_mov_b64_e32 v[12:13], 0
	s_cmp_eq_u32 s14, 0
	s_cbranch_scc1 .LBB6_1927
; %bb.1925:                             ;   in Loop: Header=BB6_1915 Depth=1
	s_mov_b64 s[0:1], 0
	s_wait_xcnt 0x0
	s_mov_b64 s[12:13], 0
.LBB6_1926:                             ;   Parent Loop BB6_1915 Depth=1
                                        ; =>  This Inner Loop Header: Depth=2
	s_wait_xcnt 0x0
	s_add_nc_u64 s[42:43], s[10:11], s[12:13]
	s_add_nc_u64 s[12:13], s[12:13], 1
	global_load_u8 v1, v5, s[42:43]
	s_cmp_lg_u32 s14, s12
	s_wait_loadcnt 0x0
	v_and_b32_e32 v4, 0xffff, v1
	s_delay_alu instid0(VALU_DEP_1) | instskip(SKIP_1) | instid1(VALU_DEP_1)
	v_lshlrev_b64_e32 v[14:15], s0, v[4:5]
	s_add_nc_u64 s[0:1], s[0:1], 8
	v_or_b32_e32 v12, v14, v12
	s_delay_alu instid0(VALU_DEP_2)
	v_or_b32_e32 v13, v15, v13
	s_cbranch_scc1 .LBB6_1926
.LBB6_1927:                             ;   in Loop: Header=BB6_1915 Depth=1
	s_wait_xcnt 0x0
	s_mov_b32 s12, 0
	s_mov_b64 s[0:1], s[10:11]
	s_branch .LBB6_1929
.LBB6_1928:                             ;   in Loop: Header=BB6_1915 Depth=1
	s_add_nc_u64 s[0:1], s[10:11], 8
	s_wait_xcnt 0x0
	s_mov_b32 s12, -1
                                        ; implicit-def: $vgpr12_vgpr13
.LBB6_1929:                             ;   in Loop: Header=BB6_1915 Depth=1
	s_delay_alu instid0(SALU_CYCLE_1)
	s_and_not1_b32 vcc_lo, exec_lo, s12
	s_mov_b32 s15, 0
	s_cbranch_vccnz .LBB6_1931
; %bb.1930:                             ;   in Loop: Header=BB6_1915 Depth=1
	global_load_b64 v[12:13], v5, s[10:11]
	s_add_co_i32 s15, s14, -8
.LBB6_1931:                             ;   in Loop: Header=BB6_1915 Depth=1
	s_delay_alu instid0(SALU_CYCLE_1)
	s_cmp_gt_u32 s15, 7
	s_cbranch_scc1 .LBB6_1936
; %bb.1932:                             ;   in Loop: Header=BB6_1915 Depth=1
	v_mov_b64_e32 v[14:15], 0
	s_cmp_eq_u32 s15, 0
	s_cbranch_scc1 .LBB6_1935
; %bb.1933:                             ;   in Loop: Header=BB6_1915 Depth=1
	s_wait_xcnt 0x0
	s_mov_b64 s[10:11], 0
	s_mov_b64 s[12:13], 0
.LBB6_1934:                             ;   Parent Loop BB6_1915 Depth=1
                                        ; =>  This Inner Loop Header: Depth=2
	s_wait_xcnt 0x0
	s_add_nc_u64 s[42:43], s[0:1], s[12:13]
	s_add_nc_u64 s[12:13], s[12:13], 1
	global_load_u8 v1, v5, s[42:43]
	s_cmp_lg_u32 s15, s12
	s_wait_loadcnt 0x0
	v_and_b32_e32 v4, 0xffff, v1
	s_delay_alu instid0(VALU_DEP_1) | instskip(SKIP_1) | instid1(VALU_DEP_1)
	v_lshlrev_b64_e32 v[16:17], s10, v[4:5]
	s_add_nc_u64 s[10:11], s[10:11], 8
	v_or_b32_e32 v14, v16, v14
	s_delay_alu instid0(VALU_DEP_2)
	v_or_b32_e32 v15, v17, v15
	s_cbranch_scc1 .LBB6_1934
.LBB6_1935:                             ;   in Loop: Header=BB6_1915 Depth=1
	s_mov_b32 s12, 0
	s_wait_xcnt 0x0
	s_mov_b64 s[10:11], s[0:1]
	s_branch .LBB6_1937
.LBB6_1936:                             ;   in Loop: Header=BB6_1915 Depth=1
	s_wait_xcnt 0x0
	s_add_nc_u64 s[10:11], s[0:1], 8
	s_mov_b32 s12, -1
.LBB6_1937:                             ;   in Loop: Header=BB6_1915 Depth=1
	s_delay_alu instid0(SALU_CYCLE_1)
	s_and_not1_b32 vcc_lo, exec_lo, s12
	s_mov_b32 s14, 0
	s_cbranch_vccnz .LBB6_1939
; %bb.1938:                             ;   in Loop: Header=BB6_1915 Depth=1
	global_load_b64 v[14:15], v5, s[0:1]
	s_add_co_i32 s14, s15, -8
.LBB6_1939:                             ;   in Loop: Header=BB6_1915 Depth=1
	s_delay_alu instid0(SALU_CYCLE_1)
	s_cmp_gt_u32 s14, 7
	s_cbranch_scc1 .LBB6_1944
; %bb.1940:                             ;   in Loop: Header=BB6_1915 Depth=1
	v_mov_b64_e32 v[16:17], 0
	s_cmp_eq_u32 s14, 0
	s_cbranch_scc1 .LBB6_1943
; %bb.1941:                             ;   in Loop: Header=BB6_1915 Depth=1
	s_wait_xcnt 0x0
	s_mov_b64 s[0:1], 0
	s_mov_b64 s[12:13], 0
.LBB6_1942:                             ;   Parent Loop BB6_1915 Depth=1
                                        ; =>  This Inner Loop Header: Depth=2
	s_wait_xcnt 0x0
	s_add_nc_u64 s[42:43], s[10:11], s[12:13]
	s_add_nc_u64 s[12:13], s[12:13], 1
	global_load_u8 v1, v5, s[42:43]
	s_cmp_lg_u32 s14, s12
	s_wait_loadcnt 0x0
	v_and_b32_e32 v4, 0xffff, v1
	s_delay_alu instid0(VALU_DEP_1) | instskip(SKIP_1) | instid1(VALU_DEP_1)
	v_lshlrev_b64_e32 v[18:19], s0, v[4:5]
	s_add_nc_u64 s[0:1], s[0:1], 8
	v_or_b32_e32 v16, v18, v16
	s_delay_alu instid0(VALU_DEP_2)
	v_or_b32_e32 v17, v19, v17
	s_cbranch_scc1 .LBB6_1942
.LBB6_1943:                             ;   in Loop: Header=BB6_1915 Depth=1
	s_mov_b32 s12, 0
	s_wait_xcnt 0x0
	s_mov_b64 s[0:1], s[10:11]
	s_branch .LBB6_1945
.LBB6_1944:                             ;   in Loop: Header=BB6_1915 Depth=1
	s_wait_xcnt 0x0
	s_add_nc_u64 s[0:1], s[10:11], 8
	s_mov_b32 s12, -1
                                        ; implicit-def: $vgpr16_vgpr17
.LBB6_1945:                             ;   in Loop: Header=BB6_1915 Depth=1
	s_delay_alu instid0(SALU_CYCLE_1)
	s_and_not1_b32 vcc_lo, exec_lo, s12
	s_mov_b32 s15, 0
	s_cbranch_vccnz .LBB6_1947
; %bb.1946:                             ;   in Loop: Header=BB6_1915 Depth=1
	global_load_b64 v[16:17], v5, s[10:11]
	s_add_co_i32 s15, s14, -8
.LBB6_1947:                             ;   in Loop: Header=BB6_1915 Depth=1
	s_delay_alu instid0(SALU_CYCLE_1)
	s_cmp_gt_u32 s15, 7
	s_cbranch_scc1 .LBB6_1952
; %bb.1948:                             ;   in Loop: Header=BB6_1915 Depth=1
	v_mov_b64_e32 v[18:19], 0
	s_cmp_eq_u32 s15, 0
	s_cbranch_scc1 .LBB6_1951
; %bb.1949:                             ;   in Loop: Header=BB6_1915 Depth=1
	s_wait_xcnt 0x0
	s_mov_b64 s[10:11], 0
	s_mov_b64 s[12:13], 0
.LBB6_1950:                             ;   Parent Loop BB6_1915 Depth=1
                                        ; =>  This Inner Loop Header: Depth=2
	s_wait_xcnt 0x0
	s_add_nc_u64 s[42:43], s[0:1], s[12:13]
	s_add_nc_u64 s[12:13], s[12:13], 1
	global_load_u8 v1, v5, s[42:43]
	s_cmp_lg_u32 s15, s12
	s_wait_loadcnt 0x0
	v_and_b32_e32 v4, 0xffff, v1
	s_delay_alu instid0(VALU_DEP_1) | instskip(SKIP_1) | instid1(VALU_DEP_1)
	v_lshlrev_b64_e32 v[20:21], s10, v[4:5]
	s_add_nc_u64 s[10:11], s[10:11], 8
	v_or_b32_e32 v18, v20, v18
	s_delay_alu instid0(VALU_DEP_2)
	v_or_b32_e32 v19, v21, v19
	s_cbranch_scc1 .LBB6_1950
.LBB6_1951:                             ;   in Loop: Header=BB6_1915 Depth=1
	s_mov_b32 s12, 0
	s_wait_xcnt 0x0
	s_mov_b64 s[10:11], s[0:1]
	s_branch .LBB6_1953
.LBB6_1952:                             ;   in Loop: Header=BB6_1915 Depth=1
	s_wait_xcnt 0x0
	s_add_nc_u64 s[10:11], s[0:1], 8
	s_mov_b32 s12, -1
.LBB6_1953:                             ;   in Loop: Header=BB6_1915 Depth=1
	s_delay_alu instid0(SALU_CYCLE_1)
	s_and_not1_b32 vcc_lo, exec_lo, s12
	s_mov_b32 s14, 0
	s_cbranch_vccnz .LBB6_1955
; %bb.1954:                             ;   in Loop: Header=BB6_1915 Depth=1
	global_load_b64 v[18:19], v5, s[0:1]
	s_add_co_i32 s14, s15, -8
.LBB6_1955:                             ;   in Loop: Header=BB6_1915 Depth=1
	s_delay_alu instid0(SALU_CYCLE_1)
	s_cmp_gt_u32 s14, 7
	s_cbranch_scc1 .LBB6_1960
; %bb.1956:                             ;   in Loop: Header=BB6_1915 Depth=1
	v_mov_b64_e32 v[20:21], 0
	s_cmp_eq_u32 s14, 0
	s_cbranch_scc1 .LBB6_1959
; %bb.1957:                             ;   in Loop: Header=BB6_1915 Depth=1
	s_wait_xcnt 0x0
	s_mov_b64 s[0:1], 0
	s_mov_b64 s[12:13], 0
.LBB6_1958:                             ;   Parent Loop BB6_1915 Depth=1
                                        ; =>  This Inner Loop Header: Depth=2
	s_wait_xcnt 0x0
	s_add_nc_u64 s[42:43], s[10:11], s[12:13]
	s_add_nc_u64 s[12:13], s[12:13], 1
	global_load_u8 v1, v5, s[42:43]
	s_cmp_lg_u32 s14, s12
	s_wait_loadcnt 0x0
	v_and_b32_e32 v4, 0xffff, v1
	s_delay_alu instid0(VALU_DEP_1) | instskip(SKIP_1) | instid1(VALU_DEP_1)
	v_lshlrev_b64_e32 v[22:23], s0, v[4:5]
	s_add_nc_u64 s[0:1], s[0:1], 8
	v_or_b32_e32 v20, v22, v20
	s_delay_alu instid0(VALU_DEP_2)
	v_or_b32_e32 v21, v23, v21
	s_cbranch_scc1 .LBB6_1958
.LBB6_1959:                             ;   in Loop: Header=BB6_1915 Depth=1
	s_mov_b32 s12, 0
	s_wait_xcnt 0x0
	s_mov_b64 s[0:1], s[10:11]
	s_branch .LBB6_1961
.LBB6_1960:                             ;   in Loop: Header=BB6_1915 Depth=1
	s_wait_xcnt 0x0
	s_add_nc_u64 s[0:1], s[10:11], 8
	s_mov_b32 s12, -1
                                        ; implicit-def: $vgpr20_vgpr21
.LBB6_1961:                             ;   in Loop: Header=BB6_1915 Depth=1
	s_delay_alu instid0(SALU_CYCLE_1)
	s_and_not1_b32 vcc_lo, exec_lo, s12
	s_mov_b32 s15, 0
	s_cbranch_vccnz .LBB6_1963
; %bb.1962:                             ;   in Loop: Header=BB6_1915 Depth=1
	global_load_b64 v[20:21], v5, s[10:11]
	s_add_co_i32 s15, s14, -8
.LBB6_1963:                             ;   in Loop: Header=BB6_1915 Depth=1
	s_delay_alu instid0(SALU_CYCLE_1)
	s_cmp_gt_u32 s15, 7
	s_cbranch_scc1 .LBB6_1968
; %bb.1964:                             ;   in Loop: Header=BB6_1915 Depth=1
	v_mov_b64_e32 v[22:23], 0
	s_cmp_eq_u32 s15, 0
	s_cbranch_scc1 .LBB6_1967
; %bb.1965:                             ;   in Loop: Header=BB6_1915 Depth=1
	s_wait_xcnt 0x0
	s_mov_b64 s[10:11], 0
	s_mov_b64 s[12:13], s[0:1]
.LBB6_1966:                             ;   Parent Loop BB6_1915 Depth=1
                                        ; =>  This Inner Loop Header: Depth=2
	global_load_u8 v1, v5, s[12:13]
	s_add_co_i32 s15, s15, -1
	s_wait_xcnt 0x0
	s_add_nc_u64 s[12:13], s[12:13], 1
	s_cmp_lg_u32 s15, 0
	s_wait_loadcnt 0x0
	v_and_b32_e32 v4, 0xffff, v1
	s_delay_alu instid0(VALU_DEP_1) | instskip(SKIP_1) | instid1(VALU_DEP_1)
	v_lshlrev_b64_e32 v[24:25], s10, v[4:5]
	s_add_nc_u64 s[10:11], s[10:11], 8
	v_or_b32_e32 v22, v24, v22
	s_delay_alu instid0(VALU_DEP_2)
	v_or_b32_e32 v23, v25, v23
	s_cbranch_scc1 .LBB6_1966
.LBB6_1967:                             ;   in Loop: Header=BB6_1915 Depth=1
	s_wait_xcnt 0x0
	s_mov_b32 s10, 0
	s_branch .LBB6_1969
.LBB6_1968:                             ;   in Loop: Header=BB6_1915 Depth=1
	s_wait_xcnt 0x0
	s_mov_b32 s10, -1
.LBB6_1969:                             ;   in Loop: Header=BB6_1915 Depth=1
	s_delay_alu instid0(SALU_CYCLE_1)
	s_and_not1_b32 vcc_lo, exec_lo, s10
	s_cbranch_vccnz .LBB6_1971
; %bb.1970:                             ;   in Loop: Header=BB6_1915 Depth=1
	global_load_b64 v[22:23], v5, s[0:1]
.LBB6_1971:                             ;   in Loop: Header=BB6_1915 Depth=1
	s_wait_xcnt 0x0
	v_readfirstlane_b32 s0, v32
	v_mov_b64_e32 v[28:29], 0
	s_delay_alu instid0(VALU_DEP_2)
	v_cmp_eq_u32_e64 s0, s0, v32
	s_and_saveexec_b32 s1, s0
	s_cbranch_execz .LBB6_1977
; %bb.1972:                             ;   in Loop: Header=BB6_1915 Depth=1
	global_load_b64 v[26:27], v5, s[2:3] offset:24 scope:SCOPE_SYS
	s_wait_loadcnt 0x0
	global_inv scope:SCOPE_SYS
	s_clause 0x1
	global_load_b64 v[24:25], v5, s[2:3] offset:40
	global_load_b64 v[28:29], v5, s[2:3]
	s_mov_b32 s10, exec_lo
	s_wait_loadcnt 0x1
	v_and_b32_e32 v24, v24, v26
	v_and_b32_e32 v25, v25, v27
	s_delay_alu instid0(VALU_DEP_1) | instskip(SKIP_1) | instid1(VALU_DEP_1)
	v_mul_u64_e32 v[24:25], 24, v[24:25]
	s_wait_loadcnt 0x0
	v_add_nc_u64_e32 v[24:25], v[28:29], v[24:25]
	global_load_b64 v[24:25], v[24:25], off scope:SCOPE_SYS
	s_wait_xcnt 0x0
	s_wait_loadcnt 0x0
	global_atomic_cmpswap_b64 v[28:29], v5, v[24:27], s[2:3] offset:24 th:TH_ATOMIC_RETURN scope:SCOPE_SYS
	s_wait_loadcnt 0x0
	global_inv scope:SCOPE_SYS
	s_wait_xcnt 0x0
	v_cmpx_ne_u64_e64 v[28:29], v[26:27]
	s_cbranch_execz .LBB6_1976
; %bb.1973:                             ;   in Loop: Header=BB6_1915 Depth=1
	s_mov_b32 s11, 0
.LBB6_1974:                             ;   Parent Loop BB6_1915 Depth=1
                                        ; =>  This Inner Loop Header: Depth=2
	s_sleep 1
	s_clause 0x1
	global_load_b64 v[24:25], v5, s[2:3] offset:40
	global_load_b64 v[30:31], v5, s[2:3]
	v_mov_b64_e32 v[26:27], v[28:29]
	s_wait_loadcnt 0x1
	s_delay_alu instid0(VALU_DEP_1) | instskip(SKIP_1) | instid1(VALU_DEP_1)
	v_and_b32_e32 v1, v24, v26
	s_wait_loadcnt 0x0
	v_mad_nc_u64_u32 v[28:29], v1, 24, v[30:31]
	s_delay_alu instid0(VALU_DEP_3) | instskip(NEXT) | instid1(VALU_DEP_1)
	v_and_b32_e32 v1, v25, v27
	v_mad_u32 v29, v1, 24, v29
	global_load_b64 v[24:25], v[28:29], off scope:SCOPE_SYS
	s_wait_xcnt 0x0
	s_wait_loadcnt 0x0
	global_atomic_cmpswap_b64 v[28:29], v5, v[24:27], s[2:3] offset:24 th:TH_ATOMIC_RETURN scope:SCOPE_SYS
	s_wait_loadcnt 0x0
	global_inv scope:SCOPE_SYS
	v_cmp_eq_u64_e32 vcc_lo, v[28:29], v[26:27]
	s_or_b32 s11, vcc_lo, s11
	s_wait_xcnt 0x0
	s_and_not1_b32 exec_lo, exec_lo, s11
	s_cbranch_execnz .LBB6_1974
; %bb.1975:                             ;   in Loop: Header=BB6_1915 Depth=1
	s_or_b32 exec_lo, exec_lo, s11
.LBB6_1976:                             ;   in Loop: Header=BB6_1915 Depth=1
	s_delay_alu instid0(SALU_CYCLE_1)
	s_or_b32 exec_lo, exec_lo, s10
.LBB6_1977:                             ;   in Loop: Header=BB6_1915 Depth=1
	s_delay_alu instid0(SALU_CYCLE_1)
	s_or_b32 exec_lo, exec_lo, s1
	s_clause 0x1
	global_load_b64 v[30:31], v5, s[2:3] offset:40
	global_load_b128 v[24:27], v5, s[2:3]
	v_readfirstlane_b32 s10, v28
	v_readfirstlane_b32 s11, v29
	s_mov_b32 s1, exec_lo
	s_wait_loadcnt 0x1
	v_and_b32_e32 v30, s10, v30
	v_and_b32_e32 v31, s11, v31
	s_delay_alu instid0(VALU_DEP_1) | instskip(SKIP_1) | instid1(VALU_DEP_1)
	v_mul_u64_e32 v[28:29], 24, v[30:31]
	s_wait_loadcnt 0x0
	v_add_nc_u64_e32 v[28:29], v[24:25], v[28:29]
	s_wait_xcnt 0x0
	s_and_saveexec_b32 s12, s0
	s_cbranch_execz .LBB6_1979
; %bb.1978:                             ;   in Loop: Header=BB6_1915 Depth=1
	v_mov_b32_e32 v4, s1
	global_store_b128 v[28:29], v[4:7], off offset:8
.LBB6_1979:                             ;   in Loop: Header=BB6_1915 Depth=1
	s_wait_xcnt 0x0
	s_or_b32 exec_lo, exec_lo, s12
	v_cmp_gt_u64_e64 s1, s[6:7], 56
	v_lshlrev_b64_e32 v[30:31], 12, v[30:31]
	v_and_b32_e32 v1, 0xffffff1f, v8
	s_and_b32 s1, s1, exec_lo
	s_delay_alu instid0(VALU_DEP_2) | instskip(SKIP_4) | instid1(VALU_DEP_2)
	v_add_nc_u64_e32 v[26:27], v[26:27], v[30:31]
	s_cselect_b32 s1, 0, 2
	s_lshl_b32 s12, s8, 2
	v_or_b32_e32 v1, s1, v1
	s_add_co_i32 s1, s12, 28
	v_readfirstlane_b32 s12, v26
	s_delay_alu instid0(VALU_DEP_3) | instskip(NEXT) | instid1(VALU_DEP_3)
	v_readfirstlane_b32 s13, v27
	v_and_or_b32 v8, 0x1e0, s1, v1
	s_clause 0x3
	global_store_b128 v0, v[8:11], s[12:13]
	global_store_b128 v0, v[12:15], s[12:13] offset:16
	global_store_b128 v0, v[16:19], s[12:13] offset:32
	;; [unrolled: 1-line block ×3, first 2 shown]
	s_wait_xcnt 0x0
	s_and_saveexec_b32 s1, s0
	s_cbranch_execz .LBB6_1987
; %bb.1980:                             ;   in Loop: Header=BB6_1915 Depth=1
	s_clause 0x1
	global_load_b64 v[16:17], v5, s[2:3] offset:32 scope:SCOPE_SYS
	global_load_b64 v[8:9], v5, s[2:3] offset:40
	s_mov_b32 s12, exec_lo
	v_dual_mov_b32 v14, s10 :: v_dual_mov_b32 v15, s11
	s_wait_loadcnt 0x0
	v_and_b32_e32 v9, s11, v9
	v_and_b32_e32 v8, s10, v8
	s_delay_alu instid0(VALU_DEP_1) | instskip(NEXT) | instid1(VALU_DEP_1)
	v_mul_u64_e32 v[8:9], 24, v[8:9]
	v_add_nc_u64_e32 v[12:13], v[24:25], v[8:9]
	global_store_b64 v[12:13], v[16:17], off
	global_wb scope:SCOPE_SYS
	s_wait_storecnt 0x0
	s_wait_xcnt 0x0
	global_atomic_cmpswap_b64 v[10:11], v5, v[14:17], s[2:3] offset:32 th:TH_ATOMIC_RETURN scope:SCOPE_SYS
	s_wait_loadcnt 0x0
	v_cmpx_ne_u64_e64 v[10:11], v[16:17]
	s_cbranch_execz .LBB6_1983
; %bb.1981:                             ;   in Loop: Header=BB6_1915 Depth=1
	s_mov_b32 s13, 0
.LBB6_1982:                             ;   Parent Loop BB6_1915 Depth=1
                                        ; =>  This Inner Loop Header: Depth=2
	v_dual_mov_b32 v8, s10 :: v_dual_mov_b32 v9, s11
	s_sleep 1
	global_store_b64 v[12:13], v[10:11], off
	global_wb scope:SCOPE_SYS
	s_wait_storecnt 0x0
	s_wait_xcnt 0x0
	global_atomic_cmpswap_b64 v[8:9], v5, v[8:11], s[2:3] offset:32 th:TH_ATOMIC_RETURN scope:SCOPE_SYS
	s_wait_loadcnt 0x0
	v_cmp_eq_u64_e32 vcc_lo, v[8:9], v[10:11]
	v_mov_b64_e32 v[10:11], v[8:9]
	s_or_b32 s13, vcc_lo, s13
	s_delay_alu instid0(SALU_CYCLE_1)
	s_and_not1_b32 exec_lo, exec_lo, s13
	s_cbranch_execnz .LBB6_1982
.LBB6_1983:                             ;   in Loop: Header=BB6_1915 Depth=1
	s_or_b32 exec_lo, exec_lo, s12
	global_load_b64 v[8:9], v5, s[2:3] offset:16
	s_mov_b32 s13, exec_lo
	s_mov_b32 s12, exec_lo
	v_mbcnt_lo_u32_b32 v1, s13, 0
	s_wait_xcnt 0x0
	s_delay_alu instid0(VALU_DEP_1)
	v_cmpx_eq_u32_e32 0, v1
	s_cbranch_execz .LBB6_1985
; %bb.1984:                             ;   in Loop: Header=BB6_1915 Depth=1
	s_bcnt1_i32_b32 s13, s13
	s_delay_alu instid0(SALU_CYCLE_1)
	v_mov_b32_e32 v4, s13
	global_wb scope:SCOPE_SYS
	s_wait_loadcnt 0x0
	s_wait_storecnt 0x0
	global_atomic_add_u64 v[8:9], v[4:5], off offset:8 scope:SCOPE_SYS
.LBB6_1985:                             ;   in Loop: Header=BB6_1915 Depth=1
	s_wait_xcnt 0x0
	s_or_b32 exec_lo, exec_lo, s12
	s_wait_loadcnt 0x0
	global_load_b64 v[10:11], v[8:9], off offset:16
	s_wait_loadcnt 0x0
	v_cmp_eq_u64_e32 vcc_lo, 0, v[10:11]
	s_cbranch_vccnz .LBB6_1987
; %bb.1986:                             ;   in Loop: Header=BB6_1915 Depth=1
	global_load_b32 v4, v[8:9], off offset:24
	s_wait_loadcnt 0x0
	v_readfirstlane_b32 s12, v4
	global_wb scope:SCOPE_SYS
	s_wait_storecnt 0x0
	s_wait_xcnt 0x0
	global_store_b64 v[10:11], v[4:5], off scope:SCOPE_SYS
	s_and_b32 m0, s12, 0xffffff
	s_sendmsg sendmsg(MSG_INTERRUPT)
.LBB6_1987:                             ;   in Loop: Header=BB6_1915 Depth=1
	s_wait_xcnt 0x0
	s_or_b32 exec_lo, exec_lo, s1
	v_mov_b32_e32 v1, v5
	s_delay_alu instid0(VALU_DEP_1)
	v_add_nc_u64_e32 v[8:9], v[26:27], v[0:1]
	s_branch .LBB6_1991
.LBB6_1988:                             ;   in Loop: Header=BB6_1991 Depth=2
	s_wait_xcnt 0x0
	s_or_b32 exec_lo, exec_lo, s1
	s_delay_alu instid0(VALU_DEP_1)
	v_readfirstlane_b32 s1, v1
	s_cmp_eq_u32 s1, 0
	s_cbranch_scc1 .LBB6_1990
; %bb.1989:                             ;   in Loop: Header=BB6_1991 Depth=2
	s_sleep 1
	s_cbranch_execnz .LBB6_1991
	s_branch .LBB6_1993
.LBB6_1990:                             ;   in Loop: Header=BB6_1915 Depth=1
	s_branch .LBB6_1993
.LBB6_1991:                             ;   Parent Loop BB6_1915 Depth=1
                                        ; =>  This Inner Loop Header: Depth=2
	v_mov_b32_e32 v1, 1
	s_and_saveexec_b32 s1, s0
	s_cbranch_execz .LBB6_1988
; %bb.1992:                             ;   in Loop: Header=BB6_1991 Depth=2
	global_load_b32 v1, v[28:29], off offset:20 scope:SCOPE_SYS
	s_wait_loadcnt 0x0
	global_inv scope:SCOPE_SYS
	v_and_b32_e32 v1, 1, v1
	s_branch .LBB6_1988
.LBB6_1993:                             ;   in Loop: Header=BB6_1915 Depth=1
	global_load_b128 v[8:11], v[8:9], off
	s_wait_xcnt 0x0
	s_and_saveexec_b32 s12, s0
	s_cbranch_execz .LBB6_1914
; %bb.1994:                             ;   in Loop: Header=BB6_1915 Depth=1
	s_wait_loadcnt 0x0
	s_clause 0x2
	global_load_b64 v[10:11], v5, s[2:3] offset:40
	global_load_b64 v[18:19], v5, s[2:3] offset:24 scope:SCOPE_SYS
	global_load_b64 v[12:13], v5, s[2:3]
	s_wait_loadcnt 0x2
	v_readfirstlane_b32 s14, v10
	v_readfirstlane_b32 s15, v11
	s_add_nc_u64 s[0:1], s[14:15], 1
	s_delay_alu instid0(SALU_CYCLE_1) | instskip(NEXT) | instid1(SALU_CYCLE_1)
	s_add_nc_u64 s[10:11], s[0:1], s[10:11]
	s_cmp_eq_u64 s[10:11], 0
	s_cselect_b32 s1, s1, s11
	s_cselect_b32 s0, s0, s10
	s_delay_alu instid0(SALU_CYCLE_1) | instskip(SKIP_1) | instid1(SALU_CYCLE_1)
	v_dual_mov_b32 v17, s1 :: v_dual_mov_b32 v16, s0
	s_and_b64 s[10:11], s[0:1], s[14:15]
	s_mul_u64 s[10:11], s[10:11], 24
	s_wait_loadcnt 0x0
	v_add_nc_u64_e32 v[14:15], s[10:11], v[12:13]
	global_store_b64 v[14:15], v[18:19], off
	global_wb scope:SCOPE_SYS
	s_wait_storecnt 0x0
	s_wait_xcnt 0x0
	global_atomic_cmpswap_b64 v[12:13], v5, v[16:19], s[2:3] offset:24 th:TH_ATOMIC_RETURN scope:SCOPE_SYS
	s_wait_loadcnt 0x0
	v_cmp_ne_u64_e32 vcc_lo, v[12:13], v[18:19]
	s_and_b32 exec_lo, exec_lo, vcc_lo
	s_cbranch_execz .LBB6_1914
; %bb.1995:                             ;   in Loop: Header=BB6_1915 Depth=1
	s_mov_b32 s10, 0
.LBB6_1996:                             ;   Parent Loop BB6_1915 Depth=1
                                        ; =>  This Inner Loop Header: Depth=2
	v_dual_mov_b32 v10, s0 :: v_dual_mov_b32 v11, s1
	s_sleep 1
	global_store_b64 v[14:15], v[12:13], off
	global_wb scope:SCOPE_SYS
	s_wait_storecnt 0x0
	s_wait_xcnt 0x0
	global_atomic_cmpswap_b64 v[10:11], v5, v[10:13], s[2:3] offset:24 th:TH_ATOMIC_RETURN scope:SCOPE_SYS
	s_wait_loadcnt 0x0
	v_cmp_eq_u64_e32 vcc_lo, v[10:11], v[12:13]
	v_mov_b64_e32 v[12:13], v[10:11]
	s_or_b32 s10, vcc_lo, s10
	s_delay_alu instid0(SALU_CYCLE_1)
	s_and_not1_b32 exec_lo, exec_lo, s10
	s_cbranch_execnz .LBB6_1996
	s_branch .LBB6_1914
.LBB6_1997:
	s_mov_b32 s0, 0
	s_branch .LBB6_1999
.LBB6_1998:
	s_mov_b32 s0, -1
.LBB6_1999:
	s_delay_alu instid0(SALU_CYCLE_1)
	s_and_b32 vcc_lo, exec_lo, s0
	s_cbranch_vccz .LBB6_2027
; %bb.2000:
	v_readfirstlane_b32 s0, v32
	s_wait_loadcnt 0x0
	v_mov_b64_e32 v[10:11], 0
	s_delay_alu instid0(VALU_DEP_2)
	v_cmp_eq_u32_e64 s0, s0, v32
	s_and_saveexec_b32 s1, s0
	s_cbranch_execz .LBB6_2006
; %bb.2001:
	v_mov_b32_e32 v1, 0
	s_mov_b32 s4, exec_lo
	global_load_b64 v[6:7], v1, s[2:3] offset:24 scope:SCOPE_SYS
	s_wait_loadcnt 0x0
	global_inv scope:SCOPE_SYS
	s_clause 0x1
	global_load_b64 v[4:5], v1, s[2:3] offset:40
	global_load_b64 v[8:9], v1, s[2:3]
	s_wait_loadcnt 0x1
	v_and_b32_e32 v4, v4, v6
	v_and_b32_e32 v5, v5, v7
	s_delay_alu instid0(VALU_DEP_1) | instskip(SKIP_1) | instid1(VALU_DEP_1)
	v_mul_u64_e32 v[4:5], 24, v[4:5]
	s_wait_loadcnt 0x0
	v_add_nc_u64_e32 v[4:5], v[8:9], v[4:5]
	global_load_b64 v[4:5], v[4:5], off scope:SCOPE_SYS
	s_wait_xcnt 0x0
	s_wait_loadcnt 0x0
	global_atomic_cmpswap_b64 v[10:11], v1, v[4:7], s[2:3] offset:24 th:TH_ATOMIC_RETURN scope:SCOPE_SYS
	s_wait_loadcnt 0x0
	global_inv scope:SCOPE_SYS
	s_wait_xcnt 0x0
	v_cmpx_ne_u64_e64 v[10:11], v[6:7]
	s_cbranch_execz .LBB6_2005
; %bb.2002:
	s_mov_b32 s5, 0
.LBB6_2003:                             ; =>This Inner Loop Header: Depth=1
	s_sleep 1
	s_clause 0x1
	global_load_b64 v[4:5], v1, s[2:3] offset:40
	global_load_b64 v[8:9], v1, s[2:3]
	v_mov_b64_e32 v[6:7], v[10:11]
	s_wait_loadcnt 0x1
	s_delay_alu instid0(VALU_DEP_1) | instskip(SKIP_1) | instid1(VALU_DEP_1)
	v_and_b32_e32 v4, v4, v6
	s_wait_loadcnt 0x0
	v_mad_nc_u64_u32 v[8:9], v4, 24, v[8:9]
	s_delay_alu instid0(VALU_DEP_3) | instskip(NEXT) | instid1(VALU_DEP_1)
	v_and_b32_e32 v4, v5, v7
	v_mad_u32 v9, v4, 24, v9
	global_load_b64 v[4:5], v[8:9], off scope:SCOPE_SYS
	s_wait_xcnt 0x0
	s_wait_loadcnt 0x0
	global_atomic_cmpswap_b64 v[10:11], v1, v[4:7], s[2:3] offset:24 th:TH_ATOMIC_RETURN scope:SCOPE_SYS
	s_wait_loadcnt 0x0
	global_inv scope:SCOPE_SYS
	v_cmp_eq_u64_e32 vcc_lo, v[10:11], v[6:7]
	s_or_b32 s5, vcc_lo, s5
	s_wait_xcnt 0x0
	s_and_not1_b32 exec_lo, exec_lo, s5
	s_cbranch_execnz .LBB6_2003
; %bb.2004:
	s_or_b32 exec_lo, exec_lo, s5
.LBB6_2005:
	s_delay_alu instid0(SALU_CYCLE_1)
	s_or_b32 exec_lo, exec_lo, s4
.LBB6_2006:
	s_delay_alu instid0(SALU_CYCLE_1)
	s_or_b32 exec_lo, exec_lo, s1
	v_readfirstlane_b32 s4, v10
	v_mov_b32_e32 v4, 0
	v_readfirstlane_b32 s5, v11
	s_mov_b32 s1, exec_lo
	s_clause 0x1
	global_load_b64 v[12:13], v4, s[2:3] offset:40
	global_load_b128 v[6:9], v4, s[2:3]
	s_wait_loadcnt 0x1
	v_and_b32_e32 v12, s4, v12
	v_and_b32_e32 v13, s5, v13
	s_delay_alu instid0(VALU_DEP_1) | instskip(SKIP_1) | instid1(VALU_DEP_1)
	v_mul_u64_e32 v[10:11], 24, v[12:13]
	s_wait_loadcnt 0x0
	v_add_nc_u64_e32 v[10:11], v[6:7], v[10:11]
	s_wait_xcnt 0x0
	s_and_saveexec_b32 s6, s0
	s_cbranch_execz .LBB6_2008
; %bb.2007:
	v_mov_b64_e32 v[16:17], 0x100000002
	v_dual_mov_b32 v14, s1 :: v_dual_mov_b32 v15, v4
	global_store_b128 v[10:11], v[14:17], off offset:8
.LBB6_2008:
	s_wait_xcnt 0x0
	s_or_b32 exec_lo, exec_lo, s6
	v_lshlrev_b64_e32 v[12:13], 12, v[12:13]
	s_mov_b32 s8, 0
	v_and_or_b32 v2, 0xffffff1d, v2, 34
	s_mov_b32 s10, s8
	s_mov_b32 s11, s8
	;; [unrolled: 1-line block ×3, first 2 shown]
	v_mov_b32_e32 v5, v4
	v_add_nc_u64_e32 v[8:9], v[8:9], v[12:13]
	v_mov_b64_e32 v[14:15], s[10:11]
	v_mov_b64_e32 v[12:13], s[8:9]
	s_delay_alu instid0(VALU_DEP_3) | instskip(NEXT) | instid1(VALU_DEP_4)
	v_readfirstlane_b32 s6, v8
	v_readfirstlane_b32 s7, v9
	s_clause 0x3
	global_store_b128 v0, v[2:5], s[6:7]
	global_store_b128 v0, v[12:15], s[6:7] offset:16
	global_store_b128 v0, v[12:15], s[6:7] offset:32
	;; [unrolled: 1-line block ×3, first 2 shown]
	s_wait_xcnt 0x0
	s_and_saveexec_b32 s1, s0
	s_cbranch_execz .LBB6_2016
; %bb.2009:
	v_dual_mov_b32 v8, 0 :: v_dual_mov_b32 v13, s5
	s_mov_b32 s6, exec_lo
	s_clause 0x1
	global_load_b64 v[14:15], v8, s[2:3] offset:32 scope:SCOPE_SYS
	global_load_b64 v[0:1], v8, s[2:3] offset:40
	s_wait_loadcnt 0x0
	v_dual_mov_b32 v12, s4 :: v_dual_bitop2_b32 v1, s5, v1 bitop3:0x40
	v_and_b32_e32 v0, s4, v0
	s_delay_alu instid0(VALU_DEP_1) | instskip(NEXT) | instid1(VALU_DEP_1)
	v_mul_u64_e32 v[0:1], 24, v[0:1]
	v_add_nc_u64_e32 v[4:5], v[6:7], v[0:1]
	global_store_b64 v[4:5], v[14:15], off
	global_wb scope:SCOPE_SYS
	s_wait_storecnt 0x0
	s_wait_xcnt 0x0
	global_atomic_cmpswap_b64 v[2:3], v8, v[12:15], s[2:3] offset:32 th:TH_ATOMIC_RETURN scope:SCOPE_SYS
	s_wait_loadcnt 0x0
	v_cmpx_ne_u64_e64 v[2:3], v[14:15]
	s_cbranch_execz .LBB6_2012
; %bb.2010:
	s_mov_b32 s7, 0
.LBB6_2011:                             ; =>This Inner Loop Header: Depth=1
	v_dual_mov_b32 v0, s4 :: v_dual_mov_b32 v1, s5
	s_sleep 1
	global_store_b64 v[4:5], v[2:3], off
	global_wb scope:SCOPE_SYS
	s_wait_storecnt 0x0
	s_wait_xcnt 0x0
	global_atomic_cmpswap_b64 v[0:1], v8, v[0:3], s[2:3] offset:32 th:TH_ATOMIC_RETURN scope:SCOPE_SYS
	s_wait_loadcnt 0x0
	v_cmp_eq_u64_e32 vcc_lo, v[0:1], v[2:3]
	v_mov_b64_e32 v[2:3], v[0:1]
	s_or_b32 s7, vcc_lo, s7
	s_delay_alu instid0(SALU_CYCLE_1)
	s_and_not1_b32 exec_lo, exec_lo, s7
	s_cbranch_execnz .LBB6_2011
.LBB6_2012:
	s_or_b32 exec_lo, exec_lo, s6
	v_mov_b32_e32 v3, 0
	s_mov_b32 s7, exec_lo
	s_mov_b32 s6, exec_lo
	v_mbcnt_lo_u32_b32 v2, s7, 0
	global_load_b64 v[0:1], v3, s[2:3] offset:16
	s_wait_xcnt 0x0
	v_cmpx_eq_u32_e32 0, v2
	s_cbranch_execz .LBB6_2014
; %bb.2013:
	s_bcnt1_i32_b32 s7, s7
	s_delay_alu instid0(SALU_CYCLE_1)
	v_mov_b32_e32 v2, s7
	global_wb scope:SCOPE_SYS
	s_wait_loadcnt 0x0
	s_wait_storecnt 0x0
	global_atomic_add_u64 v[0:1], v[2:3], off offset:8 scope:SCOPE_SYS
.LBB6_2014:
	s_wait_xcnt 0x0
	s_or_b32 exec_lo, exec_lo, s6
	s_wait_loadcnt 0x0
	global_load_b64 v[2:3], v[0:1], off offset:16
	s_wait_loadcnt 0x0
	v_cmp_eq_u64_e32 vcc_lo, 0, v[2:3]
	s_cbranch_vccnz .LBB6_2016
; %bb.2015:
	global_load_b32 v0, v[0:1], off offset:24
	s_wait_xcnt 0x0
	v_mov_b32_e32 v1, 0
	s_wait_loadcnt 0x0
	v_readfirstlane_b32 s6, v0
	global_wb scope:SCOPE_SYS
	s_wait_storecnt 0x0
	global_store_b64 v[2:3], v[0:1], off scope:SCOPE_SYS
	s_and_b32 m0, s6, 0xffffff
	s_sendmsg sendmsg(MSG_INTERRUPT)
.LBB6_2016:
	s_wait_xcnt 0x0
	s_or_b32 exec_lo, exec_lo, s1
	s_branch .LBB6_2020
.LBB6_2017:                             ;   in Loop: Header=BB6_2020 Depth=1
	s_wait_xcnt 0x0
	s_or_b32 exec_lo, exec_lo, s1
	s_delay_alu instid0(VALU_DEP_1)
	v_readfirstlane_b32 s1, v0
	s_cmp_eq_u32 s1, 0
	s_cbranch_scc1 .LBB6_2019
; %bb.2018:                             ;   in Loop: Header=BB6_2020 Depth=1
	s_sleep 1
	s_cbranch_execnz .LBB6_2020
	s_branch .LBB6_2022
.LBB6_2019:
	s_branch .LBB6_2022
.LBB6_2020:                             ; =>This Inner Loop Header: Depth=1
	v_mov_b32_e32 v0, 1
	s_and_saveexec_b32 s1, s0
	s_cbranch_execz .LBB6_2017
; %bb.2021:                             ;   in Loop: Header=BB6_2020 Depth=1
	global_load_b32 v0, v[10:11], off offset:20 scope:SCOPE_SYS
	s_wait_loadcnt 0x0
	global_inv scope:SCOPE_SYS
	v_and_b32_e32 v0, 1, v0
	s_branch .LBB6_2017
.LBB6_2022:
	s_and_saveexec_b32 s6, s0
	s_cbranch_execz .LBB6_2026
; %bb.2023:
	v_mov_b32_e32 v6, 0
	s_clause 0x2
	global_load_b64 v[0:1], v6, s[2:3] offset:40
	global_load_b64 v[10:11], v6, s[2:3] offset:24 scope:SCOPE_SYS
	global_load_b64 v[2:3], v6, s[2:3]
	s_wait_loadcnt 0x2
	v_readfirstlane_b32 s8, v0
	v_readfirstlane_b32 s9, v1
	s_add_nc_u64 s[0:1], s[8:9], 1
	s_delay_alu instid0(SALU_CYCLE_1) | instskip(NEXT) | instid1(SALU_CYCLE_1)
	s_add_nc_u64 s[4:5], s[0:1], s[4:5]
	s_cmp_eq_u64 s[4:5], 0
	s_cselect_b32 s1, s1, s5
	s_cselect_b32 s0, s0, s4
	v_mov_b32_e32 v9, s1
	s_and_b64 s[4:5], s[0:1], s[8:9]
	v_mov_b32_e32 v8, s0
	s_mul_u64 s[4:5], s[4:5], 24
	s_wait_loadcnt 0x0
	v_add_nc_u64_e32 v[4:5], s[4:5], v[2:3]
	global_store_b64 v[4:5], v[10:11], off
	global_wb scope:SCOPE_SYS
	s_wait_storecnt 0x0
	s_wait_xcnt 0x0
	global_atomic_cmpswap_b64 v[2:3], v6, v[8:11], s[2:3] offset:24 th:TH_ATOMIC_RETURN scope:SCOPE_SYS
	s_wait_loadcnt 0x0
	v_cmp_ne_u64_e32 vcc_lo, v[2:3], v[10:11]
	s_and_b32 exec_lo, exec_lo, vcc_lo
	s_cbranch_execz .LBB6_2026
; %bb.2024:
	s_mov_b32 s4, 0
.LBB6_2025:                             ; =>This Inner Loop Header: Depth=1
	v_dual_mov_b32 v0, s0 :: v_dual_mov_b32 v1, s1
	s_sleep 1
	global_store_b64 v[4:5], v[2:3], off
	global_wb scope:SCOPE_SYS
	s_wait_storecnt 0x0
	s_wait_xcnt 0x0
	global_atomic_cmpswap_b64 v[0:1], v6, v[0:3], s[2:3] offset:24 th:TH_ATOMIC_RETURN scope:SCOPE_SYS
	s_wait_loadcnt 0x0
	v_cmp_eq_u64_e32 vcc_lo, v[0:1], v[2:3]
	v_mov_b64_e32 v[2:3], v[0:1]
	s_or_b32 s4, vcc_lo, s4
	s_delay_alu instid0(SALU_CYCLE_1)
	s_and_not1_b32 exec_lo, exec_lo, s4
	s_cbranch_execnz .LBB6_2025
.LBB6_2026:
	s_or_b32 exec_lo, exec_lo, s6
.LBB6_2027:
	s_get_pc_i64 s[0:1]
	s_add_nc_u64 s[0:1], s[0:1], .str.29@rel64+4
	s_get_pc_i64 s[2:3]
	s_add_nc_u64 s[2:3], s[2:3], .str.19@rel64+4
	s_get_pc_i64 s[4:5]
	s_add_nc_u64 s[4:5], s[4:5], __PRETTY_FUNCTION__._ZN7VecsMemIjLi8192EE5fetchEi@rel64+4
	v_dual_mov_b32 v0, s0 :: v_dual_mov_b32 v1, s1
	s_wait_loadcnt 0x0
	v_dual_mov_b32 v2, s2 :: v_dual_mov_b32 v3, s3
	v_dual_mov_b32 v4, 12 :: v_dual_mov_b32 v5, s4
	v_mov_b32_e32 v6, s5
	s_get_pc_i64 s[6:7]
	s_add_nc_u64 s[6:7], s[6:7], __assert_fail@rel64+4
	s_mov_b64 s[8:9], s[52:53]
	s_swap_pc_i64 s[30:31], s[6:7]
	s_or_b32 s0, s23, exec_lo
.LBB6_2028:
	s_or_b32 exec_lo, exec_lo, s41
	s_delay_alu instid0(SALU_CYCLE_1) | instskip(SKIP_1) | instid1(SALU_CYCLE_1)
	s_and_not1_b32 s1, s23, exec_lo
	s_and_b32 s0, s0, exec_lo
	s_or_b32 s67, s1, s0
	s_or_not1_b32 s1, s29, exec_lo
.LBB6_2029:
	s_or_b32 exec_lo, exec_lo, s28
	s_mov_b32 s0, 0
	s_mov_b32 s2, s24
                                        ; implicit-def: $vgpr44
	s_and_saveexec_b32 s68, s1
	s_cbranch_execz .LBB6_2396
; %bb.2030:
	v_mov_b64_e32 v[82:83], 0
	v_mov_b32_e32 v0, 0
	s_mov_b32 s2, -1
	s_mov_b32 s69, s67
	s_clause 0x1
	scratch_store_b64 off, v[70:71], s33 offset:104
	scratch_store_b32 off, v0, s33 offset:116
	s_wait_xcnt 0x0
	s_and_saveexec_b32 s28, s17
	s_cbranch_execz .LBB6_2177
; %bb.2031:
	flat_load_b32 v0, v[60:61]
	v_mov_b64_e32 v[82:83], 0
	s_mov_b32 s17, 0
	s_mov_b32 s0, exec_lo
	s_wait_loadcnt_dscnt 0x0
	v_add_nc_u32_e32 v0, v0, v80
	s_wait_xcnt 0x0
	s_delay_alu instid0(VALU_DEP_1)
	v_cmpx_gt_i32_e32 0x2001, v0
	s_xor_b32 s0, exec_lo, s0
	s_cbranch_execz .LBB6_2033
; %bb.2032:
	v_dual_mov_b32 v81, 0 :: v_dual_ashrrev_i32 v1, 31, v0
	s_mov_b32 s17, exec_lo
	flat_store_b32 v[60:61], v0
	v_lshlrev_b64_e32 v[2:3], 2, v[80:81]
	v_lshl_add_u64 v[4:5], v[0:1], 2, v[60:61]
	s_delay_alu instid0(VALU_DEP_1) | instskip(NEXT) | instid1(VALU_DEP_1)
	v_sub_nc_u64_e32 v[2:3], v[4:5], v[2:3]
	v_add_nc_u64_e32 v[82:83], 4, v[2:3]
.LBB6_2033:
	s_wait_xcnt 0x0
	s_or_saveexec_b32 s29, s0
	s_mov_b32 s0, s67
	s_xor_b32 exec_lo, exec_lo, s29
	s_cbranch_execz .LBB6_2176
; %bb.2034:
	s_load_b64 s[2:3], s[52:53], 0x50
	v_mbcnt_lo_u32_b32 v32, -1, 0
	v_mov_b64_e32 v[2:3], 0
	s_delay_alu instid0(VALU_DEP_2) | instskip(NEXT) | instid1(VALU_DEP_1)
	v_readfirstlane_b32 s0, v32
	v_cmp_eq_u32_e64 s0, s0, v32
	s_and_saveexec_b32 s1, s0
	s_cbranch_execz .LBB6_2040
; %bb.2035:
	v_mov_b32_e32 v0, 0
	s_mov_b32 s4, exec_lo
	s_wait_kmcnt 0x0
	global_load_b64 v[4:5], v0, s[2:3] offset:24 scope:SCOPE_SYS
	s_wait_loadcnt 0x0
	global_inv scope:SCOPE_SYS
	s_clause 0x1
	global_load_b64 v[2:3], v0, s[2:3] offset:40
	global_load_b64 v[6:7], v0, s[2:3]
	s_wait_loadcnt 0x1
	v_and_b32_e32 v2, v2, v4
	v_and_b32_e32 v3, v3, v5
	s_delay_alu instid0(VALU_DEP_1) | instskip(SKIP_1) | instid1(VALU_DEP_1)
	v_mul_u64_e32 v[2:3], 24, v[2:3]
	s_wait_loadcnt 0x0
	v_add_nc_u64_e32 v[2:3], v[6:7], v[2:3]
	global_load_b64 v[2:3], v[2:3], off scope:SCOPE_SYS
	s_wait_xcnt 0x0
	s_wait_loadcnt 0x0
	global_atomic_cmpswap_b64 v[2:3], v0, v[2:5], s[2:3] offset:24 th:TH_ATOMIC_RETURN scope:SCOPE_SYS
	s_wait_loadcnt 0x0
	global_inv scope:SCOPE_SYS
	s_wait_xcnt 0x0
	v_cmpx_ne_u64_e64 v[2:3], v[4:5]
	s_cbranch_execz .LBB6_2039
; %bb.2036:
	s_mov_b32 s5, 0
.LBB6_2037:                             ; =>This Inner Loop Header: Depth=1
	s_sleep 1
	s_clause 0x1
	global_load_b64 v[6:7], v0, s[2:3] offset:40
	global_load_b64 v[8:9], v0, s[2:3]
	v_mov_b64_e32 v[4:5], v[2:3]
	s_wait_loadcnt 0x1
	s_delay_alu instid0(VALU_DEP_1) | instskip(SKIP_1) | instid1(VALU_DEP_1)
	v_and_b32_e32 v1, v6, v4
	s_wait_loadcnt 0x0
	v_mad_nc_u64_u32 v[2:3], v1, 24, v[8:9]
	s_delay_alu instid0(VALU_DEP_3) | instskip(NEXT) | instid1(VALU_DEP_1)
	v_and_b32_e32 v1, v7, v5
	v_mad_u32 v3, v1, 24, v3
	global_load_b64 v[2:3], v[2:3], off scope:SCOPE_SYS
	s_wait_xcnt 0x0
	s_wait_loadcnt 0x0
	global_atomic_cmpswap_b64 v[2:3], v0, v[2:5], s[2:3] offset:24 th:TH_ATOMIC_RETURN scope:SCOPE_SYS
	s_wait_loadcnt 0x0
	global_inv scope:SCOPE_SYS
	v_cmp_eq_u64_e32 vcc_lo, v[2:3], v[4:5]
	s_or_b32 s5, vcc_lo, s5
	s_wait_xcnt 0x0
	s_and_not1_b32 exec_lo, exec_lo, s5
	s_cbranch_execnz .LBB6_2037
; %bb.2038:
	s_or_b32 exec_lo, exec_lo, s5
.LBB6_2039:
	s_delay_alu instid0(SALU_CYCLE_1)
	s_or_b32 exec_lo, exec_lo, s4
.LBB6_2040:
	s_delay_alu instid0(SALU_CYCLE_1)
	s_or_b32 exec_lo, exec_lo, s1
	v_readfirstlane_b32 s4, v2
	v_mov_b32_e32 v1, 0
	v_readfirstlane_b32 s5, v3
	s_mov_b32 s1, exec_lo
	s_wait_kmcnt 0x0
	s_clause 0x1
	global_load_b64 v[8:9], v1, s[2:3] offset:40
	global_load_b128 v[4:7], v1, s[2:3]
	s_wait_loadcnt 0x1
	v_and_b32_e32 v10, s4, v8
	v_and_b32_e32 v11, s5, v9
	s_delay_alu instid0(VALU_DEP_1) | instskip(SKIP_1) | instid1(VALU_DEP_1)
	v_mul_u64_e32 v[2:3], 24, v[10:11]
	s_wait_loadcnt 0x0
	v_add_nc_u64_e32 v[8:9], v[4:5], v[2:3]
	s_wait_xcnt 0x0
	s_and_saveexec_b32 s6, s0
	s_cbranch_execz .LBB6_2042
; %bb.2041:
	v_mov_b64_e32 v[2:3], 0x100000002
	v_mov_b32_e32 v0, s1
	global_store_b128 v[8:9], v[0:3], off offset:8
.LBB6_2042:
	s_wait_xcnt 0x0
	s_or_b32 exec_lo, exec_lo, s6
	v_lshlrev_b64_e32 v[2:3], 12, v[10:11]
	s_mov_b32 s8, 0
	v_dual_lshlrev_b32 v0, 6, v32 :: v_dual_mov_b32 v10, 33
	s_mov_b32 s10, s8
	s_mov_b32 s11, s8
	;; [unrolled: 1-line block ×3, first 2 shown]
	s_delay_alu instid0(VALU_DEP_2)
	v_add_nc_u64_e32 v[6:7], v[6:7], v[2:3]
	v_mov_b64_e32 v[16:17], s[10:11]
	v_mov_b64_e32 v[14:15], s[8:9]
	v_dual_mov_b32 v11, v1 :: v_dual_mov_b32 v12, v1
	v_mov_b32_e32 v13, v1
	v_readfirstlane_b32 s6, v6
	v_readfirstlane_b32 s7, v7
	s_clause 0x3
	global_store_b128 v0, v[10:13], s[6:7]
	global_store_b128 v0, v[14:17], s[6:7] offset:16
	global_store_b128 v0, v[14:17], s[6:7] offset:32
	;; [unrolled: 1-line block ×3, first 2 shown]
	s_wait_xcnt 0x0
	s_and_saveexec_b32 s1, s0
	s_cbranch_execz .LBB6_2050
; %bb.2043:
	v_dual_mov_b32 v12, 0 :: v_dual_mov_b32 v15, s5
	s_mov_b32 s6, exec_lo
	s_clause 0x1
	global_load_b64 v[16:17], v12, s[2:3] offset:32 scope:SCOPE_SYS
	global_load_b64 v[2:3], v12, s[2:3] offset:40
	s_wait_loadcnt 0x0
	v_dual_mov_b32 v14, s4 :: v_dual_bitop2_b32 v3, s5, v3 bitop3:0x40
	v_and_b32_e32 v2, s4, v2
	s_delay_alu instid0(VALU_DEP_1) | instskip(NEXT) | instid1(VALU_DEP_1)
	v_mul_u64_e32 v[2:3], 24, v[2:3]
	v_add_nc_u64_e32 v[10:11], v[4:5], v[2:3]
	global_store_b64 v[10:11], v[16:17], off
	global_wb scope:SCOPE_SYS
	s_wait_storecnt 0x0
	s_wait_xcnt 0x0
	global_atomic_cmpswap_b64 v[4:5], v12, v[14:17], s[2:3] offset:32 th:TH_ATOMIC_RETURN scope:SCOPE_SYS
	s_wait_loadcnt 0x0
	v_cmpx_ne_u64_e64 v[4:5], v[16:17]
	s_cbranch_execz .LBB6_2046
; %bb.2044:
	s_mov_b32 s7, 0
.LBB6_2045:                             ; =>This Inner Loop Header: Depth=1
	v_dual_mov_b32 v2, s4 :: v_dual_mov_b32 v3, s5
	s_sleep 1
	global_store_b64 v[10:11], v[4:5], off
	global_wb scope:SCOPE_SYS
	s_wait_storecnt 0x0
	s_wait_xcnt 0x0
	global_atomic_cmpswap_b64 v[2:3], v12, v[2:5], s[2:3] offset:32 th:TH_ATOMIC_RETURN scope:SCOPE_SYS
	s_wait_loadcnt 0x0
	v_cmp_eq_u64_e32 vcc_lo, v[2:3], v[4:5]
	v_mov_b64_e32 v[4:5], v[2:3]
	s_or_b32 s7, vcc_lo, s7
	s_delay_alu instid0(SALU_CYCLE_1)
	s_and_not1_b32 exec_lo, exec_lo, s7
	s_cbranch_execnz .LBB6_2045
.LBB6_2046:
	s_or_b32 exec_lo, exec_lo, s6
	v_mov_b32_e32 v5, 0
	s_mov_b32 s7, exec_lo
	s_mov_b32 s6, exec_lo
	v_mbcnt_lo_u32_b32 v4, s7, 0
	global_load_b64 v[2:3], v5, s[2:3] offset:16
	s_wait_xcnt 0x0
	v_cmpx_eq_u32_e32 0, v4
	s_cbranch_execz .LBB6_2048
; %bb.2047:
	s_bcnt1_i32_b32 s7, s7
	s_delay_alu instid0(SALU_CYCLE_1)
	v_mov_b32_e32 v4, s7
	global_wb scope:SCOPE_SYS
	s_wait_loadcnt 0x0
	s_wait_storecnt 0x0
	global_atomic_add_u64 v[2:3], v[4:5], off offset:8 scope:SCOPE_SYS
.LBB6_2048:
	s_wait_xcnt 0x0
	s_or_b32 exec_lo, exec_lo, s6
	s_wait_loadcnt 0x0
	global_load_b64 v[4:5], v[2:3], off offset:16
	s_wait_loadcnt 0x0
	v_cmp_eq_u64_e32 vcc_lo, 0, v[4:5]
	s_cbranch_vccnz .LBB6_2050
; %bb.2049:
	global_load_b32 v2, v[2:3], off offset:24
	s_wait_xcnt 0x0
	v_mov_b32_e32 v3, 0
	s_wait_loadcnt 0x0
	v_readfirstlane_b32 s6, v2
	global_wb scope:SCOPE_SYS
	s_wait_storecnt 0x0
	global_store_b64 v[4:5], v[2:3], off scope:SCOPE_SYS
	s_and_b32 m0, s6, 0xffffff
	s_sendmsg sendmsg(MSG_INTERRUPT)
.LBB6_2050:
	s_wait_xcnt 0x0
	s_or_b32 exec_lo, exec_lo, s1
	v_add_nc_u64_e32 v[2:3], v[6:7], v[0:1]
	s_branch .LBB6_2054
.LBB6_2051:                             ;   in Loop: Header=BB6_2054 Depth=1
	s_wait_xcnt 0x0
	s_or_b32 exec_lo, exec_lo, s1
	s_delay_alu instid0(VALU_DEP_1)
	v_readfirstlane_b32 s1, v1
	s_cmp_eq_u32 s1, 0
	s_cbranch_scc1 .LBB6_2053
; %bb.2052:                             ;   in Loop: Header=BB6_2054 Depth=1
	s_sleep 1
	s_cbranch_execnz .LBB6_2054
	s_branch .LBB6_2056
.LBB6_2053:
	s_branch .LBB6_2056
.LBB6_2054:                             ; =>This Inner Loop Header: Depth=1
	v_mov_b32_e32 v1, 1
	s_and_saveexec_b32 s1, s0
	s_cbranch_execz .LBB6_2051
; %bb.2055:                             ;   in Loop: Header=BB6_2054 Depth=1
	global_load_b32 v1, v[8:9], off offset:20 scope:SCOPE_SYS
	s_wait_loadcnt 0x0
	global_inv scope:SCOPE_SYS
	v_and_b32_e32 v1, 1, v1
	s_branch .LBB6_2051
.LBB6_2056:
	global_load_b64 v[2:3], v[2:3], off
	s_wait_xcnt 0x0
	s_and_saveexec_b32 s6, s0
	s_cbranch_execz .LBB6_2060
; %bb.2057:
	v_mov_b32_e32 v1, 0
	s_clause 0x2
	global_load_b64 v[4:5], v1, s[2:3] offset:40
	global_load_b64 v[12:13], v1, s[2:3] offset:24 scope:SCOPE_SYS
	global_load_b64 v[6:7], v1, s[2:3]
	s_wait_loadcnt 0x2
	v_readfirstlane_b32 s8, v4
	v_readfirstlane_b32 s9, v5
	s_add_nc_u64 s[0:1], s[8:9], 1
	s_delay_alu instid0(SALU_CYCLE_1) | instskip(NEXT) | instid1(SALU_CYCLE_1)
	s_add_nc_u64 s[4:5], s[0:1], s[4:5]
	s_cmp_eq_u64 s[4:5], 0
	s_cselect_b32 s1, s1, s5
	s_cselect_b32 s0, s0, s4
	v_mov_b32_e32 v11, s1
	s_and_b64 s[4:5], s[0:1], s[8:9]
	v_mov_b32_e32 v10, s0
	s_mul_u64 s[4:5], s[4:5], 24
	s_wait_loadcnt 0x0
	v_add_nc_u64_e32 v[8:9], s[4:5], v[6:7]
	global_store_b64 v[8:9], v[12:13], off
	global_wb scope:SCOPE_SYS
	s_wait_storecnt 0x0
	s_wait_xcnt 0x0
	global_atomic_cmpswap_b64 v[6:7], v1, v[10:13], s[2:3] offset:24 th:TH_ATOMIC_RETURN scope:SCOPE_SYS
	s_wait_loadcnt 0x0
	v_cmp_ne_u64_e32 vcc_lo, v[6:7], v[12:13]
	s_and_b32 exec_lo, exec_lo, vcc_lo
	s_cbranch_execz .LBB6_2060
; %bb.2058:
	s_mov_b32 s4, 0
.LBB6_2059:                             ; =>This Inner Loop Header: Depth=1
	v_dual_mov_b32 v4, s0 :: v_dual_mov_b32 v5, s1
	s_sleep 1
	global_store_b64 v[8:9], v[6:7], off
	global_wb scope:SCOPE_SYS
	s_wait_storecnt 0x0
	s_wait_xcnt 0x0
	global_atomic_cmpswap_b64 v[4:5], v1, v[4:7], s[2:3] offset:24 th:TH_ATOMIC_RETURN scope:SCOPE_SYS
	s_wait_loadcnt 0x0
	v_cmp_eq_u64_e32 vcc_lo, v[4:5], v[6:7]
	v_mov_b64_e32 v[6:7], v[4:5]
	s_or_b32 s4, vcc_lo, s4
	s_delay_alu instid0(SALU_CYCLE_1)
	s_and_not1_b32 exec_lo, exec_lo, s4
	s_cbranch_execnz .LBB6_2059
.LBB6_2060:
	s_or_b32 exec_lo, exec_lo, s6
	s_get_pc_i64 s[4:5]
	s_add_nc_u64 s[4:5], s[4:5], .str.28@rel64+4
	s_delay_alu instid0(SALU_CYCLE_1)
	s_cmp_lg_u64 s[4:5], 0
	s_cbranch_scc0 .LBB6_2146
; %bb.2061:
	v_mov_b64_e32 v[6:7], 0x100000002
	s_wait_loadcnt 0x0
	v_dual_mov_b32 v9, v3 :: v_dual_bitop2_b32 v8, -3, v2 bitop3:0x40
	v_mov_b32_e32 v5, 0
	s_mov_b64 s[6:7], 35
	s_branch .LBB6_2063
.LBB6_2062:                             ;   in Loop: Header=BB6_2063 Depth=1
	s_or_b32 exec_lo, exec_lo, s12
	s_sub_nc_u64 s[6:7], s[6:7], s[8:9]
	s_add_nc_u64 s[4:5], s[4:5], s[8:9]
	s_cmp_lg_u64 s[6:7], 0
	s_cbranch_scc0 .LBB6_2145
.LBB6_2063:                             ; =>This Loop Header: Depth=1
                                        ;     Child Loop BB6_2066 Depth 2
                                        ;     Child Loop BB6_2074 Depth 2
	;; [unrolled: 1-line block ×11, first 2 shown]
	s_wait_loadcnt 0x0
	v_min_u64 v[10:11], s[6:7], 56
	v_cmp_gt_u64_e64 s0, s[6:7], 7
	s_and_b32 vcc_lo, exec_lo, s0
	v_readfirstlane_b32 s8, v10
	v_readfirstlane_b32 s9, v11
	s_cbranch_vccnz .LBB6_2068
; %bb.2064:                             ;   in Loop: Header=BB6_2063 Depth=1
	v_mov_b64_e32 v[10:11], 0
	s_cmp_eq_u64 s[6:7], 0
	s_cbranch_scc1 .LBB6_2067
; %bb.2065:                             ;   in Loop: Header=BB6_2063 Depth=1
	s_mov_b64 s[0:1], 0
	s_mov_b64 s[10:11], 0
.LBB6_2066:                             ;   Parent Loop BB6_2063 Depth=1
                                        ; =>  This Inner Loop Header: Depth=2
	s_wait_xcnt 0x0
	s_add_nc_u64 s[12:13], s[4:5], s[10:11]
	s_add_nc_u64 s[10:11], s[10:11], 1
	global_load_u8 v1, v5, s[12:13]
	s_cmp_lg_u32 s8, s10
	s_wait_loadcnt 0x0
	v_and_b32_e32 v4, 0xffff, v1
	s_delay_alu instid0(VALU_DEP_1) | instskip(SKIP_1) | instid1(VALU_DEP_1)
	v_lshlrev_b64_e32 v[12:13], s0, v[4:5]
	s_add_nc_u64 s[0:1], s[0:1], 8
	v_or_b32_e32 v10, v12, v10
	s_delay_alu instid0(VALU_DEP_2)
	v_or_b32_e32 v11, v13, v11
	s_cbranch_scc1 .LBB6_2066
.LBB6_2067:                             ;   in Loop: Header=BB6_2063 Depth=1
	s_mov_b32 s0, 0
	s_mov_b64 s[10:11], s[4:5]
	s_branch .LBB6_2069
.LBB6_2068:                             ;   in Loop: Header=BB6_2063 Depth=1
	s_add_nc_u64 s[10:11], s[4:5], 8
	s_mov_b32 s0, -1
.LBB6_2069:                             ;   in Loop: Header=BB6_2063 Depth=1
	s_delay_alu instid0(SALU_CYCLE_1)
	s_and_not1_b32 vcc_lo, exec_lo, s0
	s_mov_b32 s14, 0
	s_cbranch_vccnz .LBB6_2071
; %bb.2070:                             ;   in Loop: Header=BB6_2063 Depth=1
	global_load_b64 v[10:11], v5, s[4:5]
	s_add_co_i32 s14, s8, -8
.LBB6_2071:                             ;   in Loop: Header=BB6_2063 Depth=1
	s_delay_alu instid0(SALU_CYCLE_1)
	s_cmp_gt_u32 s14, 7
	s_cbranch_scc1 .LBB6_2076
; %bb.2072:                             ;   in Loop: Header=BB6_2063 Depth=1
	v_mov_b64_e32 v[12:13], 0
	s_cmp_eq_u32 s14, 0
	s_cbranch_scc1 .LBB6_2075
; %bb.2073:                             ;   in Loop: Header=BB6_2063 Depth=1
	s_mov_b64 s[0:1], 0
	s_wait_xcnt 0x0
	s_mov_b64 s[12:13], 0
.LBB6_2074:                             ;   Parent Loop BB6_2063 Depth=1
                                        ; =>  This Inner Loop Header: Depth=2
	s_wait_xcnt 0x0
	s_add_nc_u64 s[42:43], s[10:11], s[12:13]
	s_add_nc_u64 s[12:13], s[12:13], 1
	global_load_u8 v1, v5, s[42:43]
	s_cmp_lg_u32 s14, s12
	s_wait_loadcnt 0x0
	v_and_b32_e32 v4, 0xffff, v1
	s_delay_alu instid0(VALU_DEP_1) | instskip(SKIP_1) | instid1(VALU_DEP_1)
	v_lshlrev_b64_e32 v[14:15], s0, v[4:5]
	s_add_nc_u64 s[0:1], s[0:1], 8
	v_or_b32_e32 v12, v14, v12
	s_delay_alu instid0(VALU_DEP_2)
	v_or_b32_e32 v13, v15, v13
	s_cbranch_scc1 .LBB6_2074
.LBB6_2075:                             ;   in Loop: Header=BB6_2063 Depth=1
	s_wait_xcnt 0x0
	s_mov_b32 s12, 0
	s_mov_b64 s[0:1], s[10:11]
	s_branch .LBB6_2077
.LBB6_2076:                             ;   in Loop: Header=BB6_2063 Depth=1
	s_add_nc_u64 s[0:1], s[10:11], 8
	s_wait_xcnt 0x0
	s_mov_b32 s12, -1
                                        ; implicit-def: $vgpr12_vgpr13
.LBB6_2077:                             ;   in Loop: Header=BB6_2063 Depth=1
	s_delay_alu instid0(SALU_CYCLE_1)
	s_and_not1_b32 vcc_lo, exec_lo, s12
	s_mov_b32 s15, 0
	s_cbranch_vccnz .LBB6_2079
; %bb.2078:                             ;   in Loop: Header=BB6_2063 Depth=1
	global_load_b64 v[12:13], v5, s[10:11]
	s_add_co_i32 s15, s14, -8
.LBB6_2079:                             ;   in Loop: Header=BB6_2063 Depth=1
	s_delay_alu instid0(SALU_CYCLE_1)
	s_cmp_gt_u32 s15, 7
	s_cbranch_scc1 .LBB6_2084
; %bb.2080:                             ;   in Loop: Header=BB6_2063 Depth=1
	v_mov_b64_e32 v[14:15], 0
	s_cmp_eq_u32 s15, 0
	s_cbranch_scc1 .LBB6_2083
; %bb.2081:                             ;   in Loop: Header=BB6_2063 Depth=1
	s_wait_xcnt 0x0
	s_mov_b64 s[10:11], 0
	s_mov_b64 s[12:13], 0
.LBB6_2082:                             ;   Parent Loop BB6_2063 Depth=1
                                        ; =>  This Inner Loop Header: Depth=2
	s_wait_xcnt 0x0
	s_add_nc_u64 s[42:43], s[0:1], s[12:13]
	s_add_nc_u64 s[12:13], s[12:13], 1
	global_load_u8 v1, v5, s[42:43]
	s_cmp_lg_u32 s15, s12
	s_wait_loadcnt 0x0
	v_and_b32_e32 v4, 0xffff, v1
	s_delay_alu instid0(VALU_DEP_1) | instskip(SKIP_1) | instid1(VALU_DEP_1)
	v_lshlrev_b64_e32 v[16:17], s10, v[4:5]
	s_add_nc_u64 s[10:11], s[10:11], 8
	v_or_b32_e32 v14, v16, v14
	s_delay_alu instid0(VALU_DEP_2)
	v_or_b32_e32 v15, v17, v15
	s_cbranch_scc1 .LBB6_2082
.LBB6_2083:                             ;   in Loop: Header=BB6_2063 Depth=1
	s_mov_b32 s12, 0
	s_wait_xcnt 0x0
	s_mov_b64 s[10:11], s[0:1]
	s_branch .LBB6_2085
.LBB6_2084:                             ;   in Loop: Header=BB6_2063 Depth=1
	s_wait_xcnt 0x0
	s_add_nc_u64 s[10:11], s[0:1], 8
	s_mov_b32 s12, -1
.LBB6_2085:                             ;   in Loop: Header=BB6_2063 Depth=1
	s_delay_alu instid0(SALU_CYCLE_1)
	s_and_not1_b32 vcc_lo, exec_lo, s12
	s_mov_b32 s14, 0
	s_cbranch_vccnz .LBB6_2087
; %bb.2086:                             ;   in Loop: Header=BB6_2063 Depth=1
	global_load_b64 v[14:15], v5, s[0:1]
	s_add_co_i32 s14, s15, -8
.LBB6_2087:                             ;   in Loop: Header=BB6_2063 Depth=1
	s_delay_alu instid0(SALU_CYCLE_1)
	s_cmp_gt_u32 s14, 7
	s_cbranch_scc1 .LBB6_2092
; %bb.2088:                             ;   in Loop: Header=BB6_2063 Depth=1
	v_mov_b64_e32 v[16:17], 0
	s_cmp_eq_u32 s14, 0
	s_cbranch_scc1 .LBB6_2091
; %bb.2089:                             ;   in Loop: Header=BB6_2063 Depth=1
	s_wait_xcnt 0x0
	s_mov_b64 s[0:1], 0
	s_mov_b64 s[12:13], 0
.LBB6_2090:                             ;   Parent Loop BB6_2063 Depth=1
                                        ; =>  This Inner Loop Header: Depth=2
	s_wait_xcnt 0x0
	s_add_nc_u64 s[42:43], s[10:11], s[12:13]
	s_add_nc_u64 s[12:13], s[12:13], 1
	global_load_u8 v1, v5, s[42:43]
	s_cmp_lg_u32 s14, s12
	s_wait_loadcnt 0x0
	v_and_b32_e32 v4, 0xffff, v1
	s_delay_alu instid0(VALU_DEP_1) | instskip(SKIP_1) | instid1(VALU_DEP_1)
	v_lshlrev_b64_e32 v[18:19], s0, v[4:5]
	s_add_nc_u64 s[0:1], s[0:1], 8
	v_or_b32_e32 v16, v18, v16
	s_delay_alu instid0(VALU_DEP_2)
	v_or_b32_e32 v17, v19, v17
	s_cbranch_scc1 .LBB6_2090
.LBB6_2091:                             ;   in Loop: Header=BB6_2063 Depth=1
	s_mov_b32 s12, 0
	s_wait_xcnt 0x0
	s_mov_b64 s[0:1], s[10:11]
	s_branch .LBB6_2093
.LBB6_2092:                             ;   in Loop: Header=BB6_2063 Depth=1
	s_wait_xcnt 0x0
	s_add_nc_u64 s[0:1], s[10:11], 8
	s_mov_b32 s12, -1
                                        ; implicit-def: $vgpr16_vgpr17
.LBB6_2093:                             ;   in Loop: Header=BB6_2063 Depth=1
	s_delay_alu instid0(SALU_CYCLE_1)
	s_and_not1_b32 vcc_lo, exec_lo, s12
	s_mov_b32 s15, 0
	s_cbranch_vccnz .LBB6_2095
; %bb.2094:                             ;   in Loop: Header=BB6_2063 Depth=1
	global_load_b64 v[16:17], v5, s[10:11]
	s_add_co_i32 s15, s14, -8
.LBB6_2095:                             ;   in Loop: Header=BB6_2063 Depth=1
	s_delay_alu instid0(SALU_CYCLE_1)
	s_cmp_gt_u32 s15, 7
	s_cbranch_scc1 .LBB6_2100
; %bb.2096:                             ;   in Loop: Header=BB6_2063 Depth=1
	v_mov_b64_e32 v[18:19], 0
	s_cmp_eq_u32 s15, 0
	s_cbranch_scc1 .LBB6_2099
; %bb.2097:                             ;   in Loop: Header=BB6_2063 Depth=1
	s_wait_xcnt 0x0
	s_mov_b64 s[10:11], 0
	s_mov_b64 s[12:13], 0
.LBB6_2098:                             ;   Parent Loop BB6_2063 Depth=1
                                        ; =>  This Inner Loop Header: Depth=2
	s_wait_xcnt 0x0
	s_add_nc_u64 s[42:43], s[0:1], s[12:13]
	s_add_nc_u64 s[12:13], s[12:13], 1
	global_load_u8 v1, v5, s[42:43]
	s_cmp_lg_u32 s15, s12
	s_wait_loadcnt 0x0
	v_and_b32_e32 v4, 0xffff, v1
	s_delay_alu instid0(VALU_DEP_1) | instskip(SKIP_1) | instid1(VALU_DEP_1)
	v_lshlrev_b64_e32 v[20:21], s10, v[4:5]
	s_add_nc_u64 s[10:11], s[10:11], 8
	v_or_b32_e32 v18, v20, v18
	s_delay_alu instid0(VALU_DEP_2)
	v_or_b32_e32 v19, v21, v19
	s_cbranch_scc1 .LBB6_2098
.LBB6_2099:                             ;   in Loop: Header=BB6_2063 Depth=1
	s_mov_b32 s12, 0
	s_wait_xcnt 0x0
	s_mov_b64 s[10:11], s[0:1]
	s_branch .LBB6_2101
.LBB6_2100:                             ;   in Loop: Header=BB6_2063 Depth=1
	s_wait_xcnt 0x0
	s_add_nc_u64 s[10:11], s[0:1], 8
	s_mov_b32 s12, -1
.LBB6_2101:                             ;   in Loop: Header=BB6_2063 Depth=1
	s_delay_alu instid0(SALU_CYCLE_1)
	s_and_not1_b32 vcc_lo, exec_lo, s12
	s_mov_b32 s14, 0
	s_cbranch_vccnz .LBB6_2103
; %bb.2102:                             ;   in Loop: Header=BB6_2063 Depth=1
	global_load_b64 v[18:19], v5, s[0:1]
	s_add_co_i32 s14, s15, -8
.LBB6_2103:                             ;   in Loop: Header=BB6_2063 Depth=1
	s_delay_alu instid0(SALU_CYCLE_1)
	s_cmp_gt_u32 s14, 7
	s_cbranch_scc1 .LBB6_2108
; %bb.2104:                             ;   in Loop: Header=BB6_2063 Depth=1
	v_mov_b64_e32 v[20:21], 0
	s_cmp_eq_u32 s14, 0
	s_cbranch_scc1 .LBB6_2107
; %bb.2105:                             ;   in Loop: Header=BB6_2063 Depth=1
	s_wait_xcnt 0x0
	s_mov_b64 s[0:1], 0
	s_mov_b64 s[12:13], 0
.LBB6_2106:                             ;   Parent Loop BB6_2063 Depth=1
                                        ; =>  This Inner Loop Header: Depth=2
	s_wait_xcnt 0x0
	s_add_nc_u64 s[42:43], s[10:11], s[12:13]
	s_add_nc_u64 s[12:13], s[12:13], 1
	global_load_u8 v1, v5, s[42:43]
	s_cmp_lg_u32 s14, s12
	s_wait_loadcnt 0x0
	v_and_b32_e32 v4, 0xffff, v1
	s_delay_alu instid0(VALU_DEP_1) | instskip(SKIP_1) | instid1(VALU_DEP_1)
	v_lshlrev_b64_e32 v[22:23], s0, v[4:5]
	s_add_nc_u64 s[0:1], s[0:1], 8
	v_or_b32_e32 v20, v22, v20
	s_delay_alu instid0(VALU_DEP_2)
	v_or_b32_e32 v21, v23, v21
	s_cbranch_scc1 .LBB6_2106
.LBB6_2107:                             ;   in Loop: Header=BB6_2063 Depth=1
	s_mov_b32 s12, 0
	s_wait_xcnt 0x0
	s_mov_b64 s[0:1], s[10:11]
	s_branch .LBB6_2109
.LBB6_2108:                             ;   in Loop: Header=BB6_2063 Depth=1
	s_wait_xcnt 0x0
	s_add_nc_u64 s[0:1], s[10:11], 8
	s_mov_b32 s12, -1
                                        ; implicit-def: $vgpr20_vgpr21
.LBB6_2109:                             ;   in Loop: Header=BB6_2063 Depth=1
	s_delay_alu instid0(SALU_CYCLE_1)
	s_and_not1_b32 vcc_lo, exec_lo, s12
	s_mov_b32 s15, 0
	s_cbranch_vccnz .LBB6_2111
; %bb.2110:                             ;   in Loop: Header=BB6_2063 Depth=1
	global_load_b64 v[20:21], v5, s[10:11]
	s_add_co_i32 s15, s14, -8
.LBB6_2111:                             ;   in Loop: Header=BB6_2063 Depth=1
	s_delay_alu instid0(SALU_CYCLE_1)
	s_cmp_gt_u32 s15, 7
	s_cbranch_scc1 .LBB6_2116
; %bb.2112:                             ;   in Loop: Header=BB6_2063 Depth=1
	v_mov_b64_e32 v[22:23], 0
	s_cmp_eq_u32 s15, 0
	s_cbranch_scc1 .LBB6_2115
; %bb.2113:                             ;   in Loop: Header=BB6_2063 Depth=1
	s_wait_xcnt 0x0
	s_mov_b64 s[10:11], 0
	s_mov_b64 s[12:13], s[0:1]
.LBB6_2114:                             ;   Parent Loop BB6_2063 Depth=1
                                        ; =>  This Inner Loop Header: Depth=2
	global_load_u8 v1, v5, s[12:13]
	s_add_co_i32 s15, s15, -1
	s_wait_xcnt 0x0
	s_add_nc_u64 s[12:13], s[12:13], 1
	s_cmp_lg_u32 s15, 0
	s_wait_loadcnt 0x0
	v_and_b32_e32 v4, 0xffff, v1
	s_delay_alu instid0(VALU_DEP_1) | instskip(SKIP_1) | instid1(VALU_DEP_1)
	v_lshlrev_b64_e32 v[24:25], s10, v[4:5]
	s_add_nc_u64 s[10:11], s[10:11], 8
	v_or_b32_e32 v22, v24, v22
	s_delay_alu instid0(VALU_DEP_2)
	v_or_b32_e32 v23, v25, v23
	s_cbranch_scc1 .LBB6_2114
.LBB6_2115:                             ;   in Loop: Header=BB6_2063 Depth=1
	s_wait_xcnt 0x0
	s_mov_b32 s10, 0
	s_branch .LBB6_2117
.LBB6_2116:                             ;   in Loop: Header=BB6_2063 Depth=1
	s_wait_xcnt 0x0
	s_mov_b32 s10, -1
.LBB6_2117:                             ;   in Loop: Header=BB6_2063 Depth=1
	s_delay_alu instid0(SALU_CYCLE_1)
	s_and_not1_b32 vcc_lo, exec_lo, s10
	s_cbranch_vccnz .LBB6_2119
; %bb.2118:                             ;   in Loop: Header=BB6_2063 Depth=1
	global_load_b64 v[22:23], v5, s[0:1]
.LBB6_2119:                             ;   in Loop: Header=BB6_2063 Depth=1
	s_wait_xcnt 0x0
	v_readfirstlane_b32 s0, v32
	v_mov_b64_e32 v[28:29], 0
	s_delay_alu instid0(VALU_DEP_2)
	v_cmp_eq_u32_e64 s0, s0, v32
	s_and_saveexec_b32 s1, s0
	s_cbranch_execz .LBB6_2125
; %bb.2120:                             ;   in Loop: Header=BB6_2063 Depth=1
	global_load_b64 v[26:27], v5, s[2:3] offset:24 scope:SCOPE_SYS
	s_wait_loadcnt 0x0
	global_inv scope:SCOPE_SYS
	s_clause 0x1
	global_load_b64 v[24:25], v5, s[2:3] offset:40
	global_load_b64 v[28:29], v5, s[2:3]
	s_mov_b32 s10, exec_lo
	s_wait_loadcnt 0x1
	v_and_b32_e32 v24, v24, v26
	v_and_b32_e32 v25, v25, v27
	s_delay_alu instid0(VALU_DEP_1) | instskip(SKIP_1) | instid1(VALU_DEP_1)
	v_mul_u64_e32 v[24:25], 24, v[24:25]
	s_wait_loadcnt 0x0
	v_add_nc_u64_e32 v[24:25], v[28:29], v[24:25]
	global_load_b64 v[24:25], v[24:25], off scope:SCOPE_SYS
	s_wait_xcnt 0x0
	s_wait_loadcnt 0x0
	global_atomic_cmpswap_b64 v[28:29], v5, v[24:27], s[2:3] offset:24 th:TH_ATOMIC_RETURN scope:SCOPE_SYS
	s_wait_loadcnt 0x0
	global_inv scope:SCOPE_SYS
	s_wait_xcnt 0x0
	v_cmpx_ne_u64_e64 v[28:29], v[26:27]
	s_cbranch_execz .LBB6_2124
; %bb.2121:                             ;   in Loop: Header=BB6_2063 Depth=1
	s_mov_b32 s11, 0
.LBB6_2122:                             ;   Parent Loop BB6_2063 Depth=1
                                        ; =>  This Inner Loop Header: Depth=2
	s_sleep 1
	s_clause 0x1
	global_load_b64 v[24:25], v5, s[2:3] offset:40
	global_load_b64 v[30:31], v5, s[2:3]
	v_mov_b64_e32 v[26:27], v[28:29]
	s_wait_loadcnt 0x1
	s_delay_alu instid0(VALU_DEP_1) | instskip(SKIP_1) | instid1(VALU_DEP_1)
	v_and_b32_e32 v1, v24, v26
	s_wait_loadcnt 0x0
	v_mad_nc_u64_u32 v[28:29], v1, 24, v[30:31]
	s_delay_alu instid0(VALU_DEP_3) | instskip(NEXT) | instid1(VALU_DEP_1)
	v_and_b32_e32 v1, v25, v27
	v_mad_u32 v29, v1, 24, v29
	global_load_b64 v[24:25], v[28:29], off scope:SCOPE_SYS
	s_wait_xcnt 0x0
	s_wait_loadcnt 0x0
	global_atomic_cmpswap_b64 v[28:29], v5, v[24:27], s[2:3] offset:24 th:TH_ATOMIC_RETURN scope:SCOPE_SYS
	s_wait_loadcnt 0x0
	global_inv scope:SCOPE_SYS
	v_cmp_eq_u64_e32 vcc_lo, v[28:29], v[26:27]
	s_or_b32 s11, vcc_lo, s11
	s_wait_xcnt 0x0
	s_and_not1_b32 exec_lo, exec_lo, s11
	s_cbranch_execnz .LBB6_2122
; %bb.2123:                             ;   in Loop: Header=BB6_2063 Depth=1
	s_or_b32 exec_lo, exec_lo, s11
.LBB6_2124:                             ;   in Loop: Header=BB6_2063 Depth=1
	s_delay_alu instid0(SALU_CYCLE_1)
	s_or_b32 exec_lo, exec_lo, s10
.LBB6_2125:                             ;   in Loop: Header=BB6_2063 Depth=1
	s_delay_alu instid0(SALU_CYCLE_1)
	s_or_b32 exec_lo, exec_lo, s1
	s_clause 0x1
	global_load_b64 v[30:31], v5, s[2:3] offset:40
	global_load_b128 v[24:27], v5, s[2:3]
	v_readfirstlane_b32 s10, v28
	v_readfirstlane_b32 s11, v29
	s_mov_b32 s1, exec_lo
	s_wait_loadcnt 0x1
	v_and_b32_e32 v30, s10, v30
	v_and_b32_e32 v31, s11, v31
	s_delay_alu instid0(VALU_DEP_1) | instskip(SKIP_1) | instid1(VALU_DEP_1)
	v_mul_u64_e32 v[28:29], 24, v[30:31]
	s_wait_loadcnt 0x0
	v_add_nc_u64_e32 v[28:29], v[24:25], v[28:29]
	s_wait_xcnt 0x0
	s_and_saveexec_b32 s12, s0
	s_cbranch_execz .LBB6_2127
; %bb.2126:                             ;   in Loop: Header=BB6_2063 Depth=1
	v_mov_b32_e32 v4, s1
	global_store_b128 v[28:29], v[4:7], off offset:8
.LBB6_2127:                             ;   in Loop: Header=BB6_2063 Depth=1
	s_wait_xcnt 0x0
	s_or_b32 exec_lo, exec_lo, s12
	v_cmp_gt_u64_e64 s1, s[6:7], 56
	v_lshlrev_b64_e32 v[30:31], 12, v[30:31]
	v_and_b32_e32 v1, 0xffffff1f, v8
	s_and_b32 s1, s1, exec_lo
	s_delay_alu instid0(VALU_DEP_2) | instskip(SKIP_4) | instid1(VALU_DEP_2)
	v_add_nc_u64_e32 v[26:27], v[26:27], v[30:31]
	s_cselect_b32 s1, 0, 2
	s_lshl_b32 s12, s8, 2
	v_or_b32_e32 v1, s1, v1
	s_add_co_i32 s1, s12, 28
	v_readfirstlane_b32 s12, v26
	s_delay_alu instid0(VALU_DEP_3) | instskip(NEXT) | instid1(VALU_DEP_3)
	v_readfirstlane_b32 s13, v27
	v_and_or_b32 v8, 0x1e0, s1, v1
	s_clause 0x3
	global_store_b128 v0, v[8:11], s[12:13]
	global_store_b128 v0, v[12:15], s[12:13] offset:16
	global_store_b128 v0, v[16:19], s[12:13] offset:32
	;; [unrolled: 1-line block ×3, first 2 shown]
	s_wait_xcnt 0x0
	s_and_saveexec_b32 s1, s0
	s_cbranch_execz .LBB6_2135
; %bb.2128:                             ;   in Loop: Header=BB6_2063 Depth=1
	s_clause 0x1
	global_load_b64 v[16:17], v5, s[2:3] offset:32 scope:SCOPE_SYS
	global_load_b64 v[8:9], v5, s[2:3] offset:40
	s_mov_b32 s12, exec_lo
	v_dual_mov_b32 v14, s10 :: v_dual_mov_b32 v15, s11
	s_wait_loadcnt 0x0
	v_and_b32_e32 v9, s11, v9
	v_and_b32_e32 v8, s10, v8
	s_delay_alu instid0(VALU_DEP_1) | instskip(NEXT) | instid1(VALU_DEP_1)
	v_mul_u64_e32 v[8:9], 24, v[8:9]
	v_add_nc_u64_e32 v[12:13], v[24:25], v[8:9]
	global_store_b64 v[12:13], v[16:17], off
	global_wb scope:SCOPE_SYS
	s_wait_storecnt 0x0
	s_wait_xcnt 0x0
	global_atomic_cmpswap_b64 v[10:11], v5, v[14:17], s[2:3] offset:32 th:TH_ATOMIC_RETURN scope:SCOPE_SYS
	s_wait_loadcnt 0x0
	v_cmpx_ne_u64_e64 v[10:11], v[16:17]
	s_cbranch_execz .LBB6_2131
; %bb.2129:                             ;   in Loop: Header=BB6_2063 Depth=1
	s_mov_b32 s13, 0
.LBB6_2130:                             ;   Parent Loop BB6_2063 Depth=1
                                        ; =>  This Inner Loop Header: Depth=2
	v_dual_mov_b32 v8, s10 :: v_dual_mov_b32 v9, s11
	s_sleep 1
	global_store_b64 v[12:13], v[10:11], off
	global_wb scope:SCOPE_SYS
	s_wait_storecnt 0x0
	s_wait_xcnt 0x0
	global_atomic_cmpswap_b64 v[8:9], v5, v[8:11], s[2:3] offset:32 th:TH_ATOMIC_RETURN scope:SCOPE_SYS
	s_wait_loadcnt 0x0
	v_cmp_eq_u64_e32 vcc_lo, v[8:9], v[10:11]
	v_mov_b64_e32 v[10:11], v[8:9]
	s_or_b32 s13, vcc_lo, s13
	s_delay_alu instid0(SALU_CYCLE_1)
	s_and_not1_b32 exec_lo, exec_lo, s13
	s_cbranch_execnz .LBB6_2130
.LBB6_2131:                             ;   in Loop: Header=BB6_2063 Depth=1
	s_or_b32 exec_lo, exec_lo, s12
	global_load_b64 v[8:9], v5, s[2:3] offset:16
	s_mov_b32 s13, exec_lo
	s_mov_b32 s12, exec_lo
	v_mbcnt_lo_u32_b32 v1, s13, 0
	s_wait_xcnt 0x0
	s_delay_alu instid0(VALU_DEP_1)
	v_cmpx_eq_u32_e32 0, v1
	s_cbranch_execz .LBB6_2133
; %bb.2132:                             ;   in Loop: Header=BB6_2063 Depth=1
	s_bcnt1_i32_b32 s13, s13
	s_delay_alu instid0(SALU_CYCLE_1)
	v_mov_b32_e32 v4, s13
	global_wb scope:SCOPE_SYS
	s_wait_loadcnt 0x0
	s_wait_storecnt 0x0
	global_atomic_add_u64 v[8:9], v[4:5], off offset:8 scope:SCOPE_SYS
.LBB6_2133:                             ;   in Loop: Header=BB6_2063 Depth=1
	s_wait_xcnt 0x0
	s_or_b32 exec_lo, exec_lo, s12
	s_wait_loadcnt 0x0
	global_load_b64 v[10:11], v[8:9], off offset:16
	s_wait_loadcnt 0x0
	v_cmp_eq_u64_e32 vcc_lo, 0, v[10:11]
	s_cbranch_vccnz .LBB6_2135
; %bb.2134:                             ;   in Loop: Header=BB6_2063 Depth=1
	global_load_b32 v4, v[8:9], off offset:24
	s_wait_loadcnt 0x0
	v_readfirstlane_b32 s12, v4
	global_wb scope:SCOPE_SYS
	s_wait_storecnt 0x0
	s_wait_xcnt 0x0
	global_store_b64 v[10:11], v[4:5], off scope:SCOPE_SYS
	s_and_b32 m0, s12, 0xffffff
	s_sendmsg sendmsg(MSG_INTERRUPT)
.LBB6_2135:                             ;   in Loop: Header=BB6_2063 Depth=1
	s_wait_xcnt 0x0
	s_or_b32 exec_lo, exec_lo, s1
	v_mov_b32_e32 v1, v5
	s_delay_alu instid0(VALU_DEP_1)
	v_add_nc_u64_e32 v[8:9], v[26:27], v[0:1]
	s_branch .LBB6_2139
.LBB6_2136:                             ;   in Loop: Header=BB6_2139 Depth=2
	s_wait_xcnt 0x0
	s_or_b32 exec_lo, exec_lo, s1
	s_delay_alu instid0(VALU_DEP_1)
	v_readfirstlane_b32 s1, v1
	s_cmp_eq_u32 s1, 0
	s_cbranch_scc1 .LBB6_2138
; %bb.2137:                             ;   in Loop: Header=BB6_2139 Depth=2
	s_sleep 1
	s_cbranch_execnz .LBB6_2139
	s_branch .LBB6_2141
.LBB6_2138:                             ;   in Loop: Header=BB6_2063 Depth=1
	s_branch .LBB6_2141
.LBB6_2139:                             ;   Parent Loop BB6_2063 Depth=1
                                        ; =>  This Inner Loop Header: Depth=2
	v_mov_b32_e32 v1, 1
	s_and_saveexec_b32 s1, s0
	s_cbranch_execz .LBB6_2136
; %bb.2140:                             ;   in Loop: Header=BB6_2139 Depth=2
	global_load_b32 v1, v[28:29], off offset:20 scope:SCOPE_SYS
	s_wait_loadcnt 0x0
	global_inv scope:SCOPE_SYS
	v_and_b32_e32 v1, 1, v1
	s_branch .LBB6_2136
.LBB6_2141:                             ;   in Loop: Header=BB6_2063 Depth=1
	global_load_b128 v[8:11], v[8:9], off
	s_wait_xcnt 0x0
	s_and_saveexec_b32 s12, s0
	s_cbranch_execz .LBB6_2062
; %bb.2142:                             ;   in Loop: Header=BB6_2063 Depth=1
	s_wait_loadcnt 0x0
	s_clause 0x2
	global_load_b64 v[10:11], v5, s[2:3] offset:40
	global_load_b64 v[18:19], v5, s[2:3] offset:24 scope:SCOPE_SYS
	global_load_b64 v[12:13], v5, s[2:3]
	s_wait_loadcnt 0x2
	v_readfirstlane_b32 s14, v10
	v_readfirstlane_b32 s15, v11
	s_add_nc_u64 s[0:1], s[14:15], 1
	s_delay_alu instid0(SALU_CYCLE_1) | instskip(NEXT) | instid1(SALU_CYCLE_1)
	s_add_nc_u64 s[10:11], s[0:1], s[10:11]
	s_cmp_eq_u64 s[10:11], 0
	s_cselect_b32 s1, s1, s11
	s_cselect_b32 s0, s0, s10
	s_delay_alu instid0(SALU_CYCLE_1) | instskip(SKIP_1) | instid1(SALU_CYCLE_1)
	v_dual_mov_b32 v17, s1 :: v_dual_mov_b32 v16, s0
	s_and_b64 s[10:11], s[0:1], s[14:15]
	s_mul_u64 s[10:11], s[10:11], 24
	s_wait_loadcnt 0x0
	v_add_nc_u64_e32 v[14:15], s[10:11], v[12:13]
	global_store_b64 v[14:15], v[18:19], off
	global_wb scope:SCOPE_SYS
	s_wait_storecnt 0x0
	s_wait_xcnt 0x0
	global_atomic_cmpswap_b64 v[12:13], v5, v[16:19], s[2:3] offset:24 th:TH_ATOMIC_RETURN scope:SCOPE_SYS
	s_wait_loadcnt 0x0
	v_cmp_ne_u64_e32 vcc_lo, v[12:13], v[18:19]
	s_and_b32 exec_lo, exec_lo, vcc_lo
	s_cbranch_execz .LBB6_2062
; %bb.2143:                             ;   in Loop: Header=BB6_2063 Depth=1
	s_mov_b32 s10, 0
.LBB6_2144:                             ;   Parent Loop BB6_2063 Depth=1
                                        ; =>  This Inner Loop Header: Depth=2
	v_dual_mov_b32 v10, s0 :: v_dual_mov_b32 v11, s1
	s_sleep 1
	global_store_b64 v[14:15], v[12:13], off
	global_wb scope:SCOPE_SYS
	s_wait_storecnt 0x0
	s_wait_xcnt 0x0
	global_atomic_cmpswap_b64 v[10:11], v5, v[10:13], s[2:3] offset:24 th:TH_ATOMIC_RETURN scope:SCOPE_SYS
	s_wait_loadcnt 0x0
	v_cmp_eq_u64_e32 vcc_lo, v[10:11], v[12:13]
	v_mov_b64_e32 v[12:13], v[10:11]
	s_or_b32 s10, vcc_lo, s10
	s_delay_alu instid0(SALU_CYCLE_1)
	s_and_not1_b32 exec_lo, exec_lo, s10
	s_cbranch_execnz .LBB6_2144
	s_branch .LBB6_2062
.LBB6_2145:
	s_mov_b32 s0, 0
	s_branch .LBB6_2147
.LBB6_2146:
	s_mov_b32 s0, -1
.LBB6_2147:
	s_delay_alu instid0(SALU_CYCLE_1)
	s_and_b32 vcc_lo, exec_lo, s0
	s_cbranch_vccz .LBB6_2175
; %bb.2148:
	v_readfirstlane_b32 s0, v32
	s_wait_loadcnt 0x0
	v_mov_b64_e32 v[10:11], 0
	s_delay_alu instid0(VALU_DEP_2)
	v_cmp_eq_u32_e64 s0, s0, v32
	s_and_saveexec_b32 s1, s0
	s_cbranch_execz .LBB6_2154
; %bb.2149:
	v_mov_b32_e32 v1, 0
	s_mov_b32 s4, exec_lo
	global_load_b64 v[6:7], v1, s[2:3] offset:24 scope:SCOPE_SYS
	s_wait_loadcnt 0x0
	global_inv scope:SCOPE_SYS
	s_clause 0x1
	global_load_b64 v[4:5], v1, s[2:3] offset:40
	global_load_b64 v[8:9], v1, s[2:3]
	s_wait_loadcnt 0x1
	v_and_b32_e32 v4, v4, v6
	v_and_b32_e32 v5, v5, v7
	s_delay_alu instid0(VALU_DEP_1) | instskip(SKIP_1) | instid1(VALU_DEP_1)
	v_mul_u64_e32 v[4:5], 24, v[4:5]
	s_wait_loadcnt 0x0
	v_add_nc_u64_e32 v[4:5], v[8:9], v[4:5]
	global_load_b64 v[4:5], v[4:5], off scope:SCOPE_SYS
	s_wait_xcnt 0x0
	s_wait_loadcnt 0x0
	global_atomic_cmpswap_b64 v[10:11], v1, v[4:7], s[2:3] offset:24 th:TH_ATOMIC_RETURN scope:SCOPE_SYS
	s_wait_loadcnt 0x0
	global_inv scope:SCOPE_SYS
	s_wait_xcnt 0x0
	v_cmpx_ne_u64_e64 v[10:11], v[6:7]
	s_cbranch_execz .LBB6_2153
; %bb.2150:
	s_mov_b32 s5, 0
.LBB6_2151:                             ; =>This Inner Loop Header: Depth=1
	s_sleep 1
	s_clause 0x1
	global_load_b64 v[4:5], v1, s[2:3] offset:40
	global_load_b64 v[8:9], v1, s[2:3]
	v_mov_b64_e32 v[6:7], v[10:11]
	s_wait_loadcnt 0x1
	s_delay_alu instid0(VALU_DEP_1) | instskip(SKIP_1) | instid1(VALU_DEP_1)
	v_and_b32_e32 v4, v4, v6
	s_wait_loadcnt 0x0
	v_mad_nc_u64_u32 v[8:9], v4, 24, v[8:9]
	s_delay_alu instid0(VALU_DEP_3) | instskip(NEXT) | instid1(VALU_DEP_1)
	v_and_b32_e32 v4, v5, v7
	v_mad_u32 v9, v4, 24, v9
	global_load_b64 v[4:5], v[8:9], off scope:SCOPE_SYS
	s_wait_xcnt 0x0
	s_wait_loadcnt 0x0
	global_atomic_cmpswap_b64 v[10:11], v1, v[4:7], s[2:3] offset:24 th:TH_ATOMIC_RETURN scope:SCOPE_SYS
	s_wait_loadcnt 0x0
	global_inv scope:SCOPE_SYS
	v_cmp_eq_u64_e32 vcc_lo, v[10:11], v[6:7]
	s_or_b32 s5, vcc_lo, s5
	s_wait_xcnt 0x0
	s_and_not1_b32 exec_lo, exec_lo, s5
	s_cbranch_execnz .LBB6_2151
; %bb.2152:
	s_or_b32 exec_lo, exec_lo, s5
.LBB6_2153:
	s_delay_alu instid0(SALU_CYCLE_1)
	s_or_b32 exec_lo, exec_lo, s4
.LBB6_2154:
	s_delay_alu instid0(SALU_CYCLE_1)
	s_or_b32 exec_lo, exec_lo, s1
	v_readfirstlane_b32 s4, v10
	v_mov_b32_e32 v4, 0
	v_readfirstlane_b32 s5, v11
	s_mov_b32 s1, exec_lo
	s_clause 0x1
	global_load_b64 v[12:13], v4, s[2:3] offset:40
	global_load_b128 v[6:9], v4, s[2:3]
	s_wait_loadcnt 0x1
	v_and_b32_e32 v12, s4, v12
	v_and_b32_e32 v13, s5, v13
	s_delay_alu instid0(VALU_DEP_1) | instskip(SKIP_1) | instid1(VALU_DEP_1)
	v_mul_u64_e32 v[10:11], 24, v[12:13]
	s_wait_loadcnt 0x0
	v_add_nc_u64_e32 v[10:11], v[6:7], v[10:11]
	s_wait_xcnt 0x0
	s_and_saveexec_b32 s6, s0
	s_cbranch_execz .LBB6_2156
; %bb.2155:
	v_mov_b64_e32 v[16:17], 0x100000002
	v_dual_mov_b32 v14, s1 :: v_dual_mov_b32 v15, v4
	global_store_b128 v[10:11], v[14:17], off offset:8
.LBB6_2156:
	s_wait_xcnt 0x0
	s_or_b32 exec_lo, exec_lo, s6
	v_lshlrev_b64_e32 v[12:13], 12, v[12:13]
	s_mov_b32 s8, 0
	v_and_or_b32 v2, 0xffffff1d, v2, 34
	s_mov_b32 s10, s8
	s_mov_b32 s11, s8
	;; [unrolled: 1-line block ×3, first 2 shown]
	v_mov_b32_e32 v5, v4
	v_add_nc_u64_e32 v[8:9], v[8:9], v[12:13]
	v_mov_b64_e32 v[14:15], s[10:11]
	v_mov_b64_e32 v[12:13], s[8:9]
	s_delay_alu instid0(VALU_DEP_3) | instskip(NEXT) | instid1(VALU_DEP_4)
	v_readfirstlane_b32 s6, v8
	v_readfirstlane_b32 s7, v9
	s_clause 0x3
	global_store_b128 v0, v[2:5], s[6:7]
	global_store_b128 v0, v[12:15], s[6:7] offset:16
	global_store_b128 v0, v[12:15], s[6:7] offset:32
	global_store_b128 v0, v[12:15], s[6:7] offset:48
	s_wait_xcnt 0x0
	s_and_saveexec_b32 s1, s0
	s_cbranch_execz .LBB6_2164
; %bb.2157:
	v_dual_mov_b32 v8, 0 :: v_dual_mov_b32 v13, s5
	s_mov_b32 s6, exec_lo
	s_clause 0x1
	global_load_b64 v[14:15], v8, s[2:3] offset:32 scope:SCOPE_SYS
	global_load_b64 v[0:1], v8, s[2:3] offset:40
	s_wait_loadcnt 0x0
	v_dual_mov_b32 v12, s4 :: v_dual_bitop2_b32 v1, s5, v1 bitop3:0x40
	v_and_b32_e32 v0, s4, v0
	s_delay_alu instid0(VALU_DEP_1) | instskip(NEXT) | instid1(VALU_DEP_1)
	v_mul_u64_e32 v[0:1], 24, v[0:1]
	v_add_nc_u64_e32 v[4:5], v[6:7], v[0:1]
	global_store_b64 v[4:5], v[14:15], off
	global_wb scope:SCOPE_SYS
	s_wait_storecnt 0x0
	s_wait_xcnt 0x0
	global_atomic_cmpswap_b64 v[2:3], v8, v[12:15], s[2:3] offset:32 th:TH_ATOMIC_RETURN scope:SCOPE_SYS
	s_wait_loadcnt 0x0
	v_cmpx_ne_u64_e64 v[2:3], v[14:15]
	s_cbranch_execz .LBB6_2160
; %bb.2158:
	s_mov_b32 s7, 0
.LBB6_2159:                             ; =>This Inner Loop Header: Depth=1
	v_dual_mov_b32 v0, s4 :: v_dual_mov_b32 v1, s5
	s_sleep 1
	global_store_b64 v[4:5], v[2:3], off
	global_wb scope:SCOPE_SYS
	s_wait_storecnt 0x0
	s_wait_xcnt 0x0
	global_atomic_cmpswap_b64 v[0:1], v8, v[0:3], s[2:3] offset:32 th:TH_ATOMIC_RETURN scope:SCOPE_SYS
	s_wait_loadcnt 0x0
	v_cmp_eq_u64_e32 vcc_lo, v[0:1], v[2:3]
	v_mov_b64_e32 v[2:3], v[0:1]
	s_or_b32 s7, vcc_lo, s7
	s_delay_alu instid0(SALU_CYCLE_1)
	s_and_not1_b32 exec_lo, exec_lo, s7
	s_cbranch_execnz .LBB6_2159
.LBB6_2160:
	s_or_b32 exec_lo, exec_lo, s6
	v_mov_b32_e32 v3, 0
	s_mov_b32 s7, exec_lo
	s_mov_b32 s6, exec_lo
	v_mbcnt_lo_u32_b32 v2, s7, 0
	global_load_b64 v[0:1], v3, s[2:3] offset:16
	s_wait_xcnt 0x0
	v_cmpx_eq_u32_e32 0, v2
	s_cbranch_execz .LBB6_2162
; %bb.2161:
	s_bcnt1_i32_b32 s7, s7
	s_delay_alu instid0(SALU_CYCLE_1)
	v_mov_b32_e32 v2, s7
	global_wb scope:SCOPE_SYS
	s_wait_loadcnt 0x0
	s_wait_storecnt 0x0
	global_atomic_add_u64 v[0:1], v[2:3], off offset:8 scope:SCOPE_SYS
.LBB6_2162:
	s_wait_xcnt 0x0
	s_or_b32 exec_lo, exec_lo, s6
	s_wait_loadcnt 0x0
	global_load_b64 v[2:3], v[0:1], off offset:16
	s_wait_loadcnt 0x0
	v_cmp_eq_u64_e32 vcc_lo, 0, v[2:3]
	s_cbranch_vccnz .LBB6_2164
; %bb.2163:
	global_load_b32 v0, v[0:1], off offset:24
	s_wait_xcnt 0x0
	v_mov_b32_e32 v1, 0
	s_wait_loadcnt 0x0
	v_readfirstlane_b32 s6, v0
	global_wb scope:SCOPE_SYS
	s_wait_storecnt 0x0
	global_store_b64 v[2:3], v[0:1], off scope:SCOPE_SYS
	s_and_b32 m0, s6, 0xffffff
	s_sendmsg sendmsg(MSG_INTERRUPT)
.LBB6_2164:
	s_wait_xcnt 0x0
	s_or_b32 exec_lo, exec_lo, s1
	s_branch .LBB6_2168
.LBB6_2165:                             ;   in Loop: Header=BB6_2168 Depth=1
	s_wait_xcnt 0x0
	s_or_b32 exec_lo, exec_lo, s1
	s_delay_alu instid0(VALU_DEP_1)
	v_readfirstlane_b32 s1, v0
	s_cmp_eq_u32 s1, 0
	s_cbranch_scc1 .LBB6_2167
; %bb.2166:                             ;   in Loop: Header=BB6_2168 Depth=1
	s_sleep 1
	s_cbranch_execnz .LBB6_2168
	s_branch .LBB6_2170
.LBB6_2167:
	s_branch .LBB6_2170
.LBB6_2168:                             ; =>This Inner Loop Header: Depth=1
	v_mov_b32_e32 v0, 1
	s_and_saveexec_b32 s1, s0
	s_cbranch_execz .LBB6_2165
; %bb.2169:                             ;   in Loop: Header=BB6_2168 Depth=1
	global_load_b32 v0, v[10:11], off offset:20 scope:SCOPE_SYS
	s_wait_loadcnt 0x0
	global_inv scope:SCOPE_SYS
	v_and_b32_e32 v0, 1, v0
	s_branch .LBB6_2165
.LBB6_2170:
	s_and_saveexec_b32 s6, s0
	s_cbranch_execz .LBB6_2174
; %bb.2171:
	v_mov_b32_e32 v6, 0
	s_clause 0x2
	global_load_b64 v[0:1], v6, s[2:3] offset:40
	global_load_b64 v[10:11], v6, s[2:3] offset:24 scope:SCOPE_SYS
	global_load_b64 v[2:3], v6, s[2:3]
	s_wait_loadcnt 0x2
	v_readfirstlane_b32 s8, v0
	v_readfirstlane_b32 s9, v1
	s_add_nc_u64 s[0:1], s[8:9], 1
	s_delay_alu instid0(SALU_CYCLE_1) | instskip(NEXT) | instid1(SALU_CYCLE_1)
	s_add_nc_u64 s[4:5], s[0:1], s[4:5]
	s_cmp_eq_u64 s[4:5], 0
	s_cselect_b32 s1, s1, s5
	s_cselect_b32 s0, s0, s4
	v_mov_b32_e32 v9, s1
	s_and_b64 s[4:5], s[0:1], s[8:9]
	v_mov_b32_e32 v8, s0
	s_mul_u64 s[4:5], s[4:5], 24
	s_wait_loadcnt 0x0
	v_add_nc_u64_e32 v[4:5], s[4:5], v[2:3]
	global_store_b64 v[4:5], v[10:11], off
	global_wb scope:SCOPE_SYS
	s_wait_storecnt 0x0
	s_wait_xcnt 0x0
	global_atomic_cmpswap_b64 v[2:3], v6, v[8:11], s[2:3] offset:24 th:TH_ATOMIC_RETURN scope:SCOPE_SYS
	s_wait_loadcnt 0x0
	v_cmp_ne_u64_e32 vcc_lo, v[2:3], v[10:11]
	s_and_b32 exec_lo, exec_lo, vcc_lo
	s_cbranch_execz .LBB6_2174
; %bb.2172:
	s_mov_b32 s4, 0
.LBB6_2173:                             ; =>This Inner Loop Header: Depth=1
	v_dual_mov_b32 v0, s0 :: v_dual_mov_b32 v1, s1
	s_sleep 1
	global_store_b64 v[4:5], v[2:3], off
	global_wb scope:SCOPE_SYS
	s_wait_storecnt 0x0
	s_wait_xcnt 0x0
	global_atomic_cmpswap_b64 v[0:1], v6, v[0:3], s[2:3] offset:24 th:TH_ATOMIC_RETURN scope:SCOPE_SYS
	s_wait_loadcnt 0x0
	v_cmp_eq_u64_e32 vcc_lo, v[0:1], v[2:3]
	v_mov_b64_e32 v[2:3], v[0:1]
	s_or_b32 s4, vcc_lo, s4
	s_delay_alu instid0(SALU_CYCLE_1)
	s_and_not1_b32 exec_lo, exec_lo, s4
	s_cbranch_execnz .LBB6_2173
.LBB6_2174:
	s_or_b32 exec_lo, exec_lo, s6
.LBB6_2175:
	s_get_pc_i64 s[0:1]
	s_add_nc_u64 s[0:1], s[0:1], .str.29@rel64+4
	s_get_pc_i64 s[2:3]
	s_add_nc_u64 s[2:3], s[2:3], .str.19@rel64+4
	s_get_pc_i64 s[4:5]
	s_add_nc_u64 s[4:5], s[4:5], __PRETTY_FUNCTION__._ZN7VecsMemIjLi8192EE5fetchEi@rel64+4
	v_dual_mov_b32 v0, s0 :: v_dual_mov_b32 v1, s1
	s_wait_loadcnt 0x0
	v_dual_mov_b32 v2, s2 :: v_dual_mov_b32 v3, s3
	v_dual_mov_b32 v4, 12 :: v_dual_mov_b32 v5, s4
	v_mov_b32_e32 v6, s5
	s_get_pc_i64 s[6:7]
	s_add_nc_u64 s[6:7], s[6:7], __assert_fail@rel64+4
	s_mov_b64 s[8:9], s[52:53]
	s_swap_pc_i64 s[30:31], s[6:7]
	s_or_b32 s0, s67, exec_lo
.LBB6_2176:
	s_or_b32 exec_lo, exec_lo, s29
	s_delay_alu instid0(SALU_CYCLE_1)
	s_and_not1_b32 s1, s67, exec_lo
	s_and_b32 s0, s0, exec_lo
	s_or_not1_b32 s2, s17, exec_lo
	s_or_b32 s69, s1, s0
.LBB6_2177:
	s_or_b32 exec_lo, exec_lo, s28
	s_mov_b32 s0, 0
	s_mov_b32 s1, s24
                                        ; implicit-def: $vgpr44
	s_and_saveexec_b32 s70, s2
	s_cbranch_execz .LBB6_2395
; %bb.2178:
	s_mov_b32 s1, 0
	s_mov_b32 s2, -1
	s_mov_b32 s0, exec_lo
	scratch_store_b64 off, v[82:83], s33 offset:120
	s_wait_xcnt 0x0
	v_cmpx_lt_i32_e32 0, v80
	s_cbranch_execz .LBB6_2186
; %bb.2179:
	v_not_b32_e32 v4, v55
	v_dual_mov_b32 v0, 0 :: v_dual_mov_b32 v5, 0
	s_mov_b32 s2, 0
	s_branch .LBB6_2181
.LBB6_2180:                             ;   in Loop: Header=BB6_2181 Depth=1
	s_wait_xcnt 0x0
	s_or_b32 exec_lo, exec_lo, s3
	v_ashrrev_i32_e32 v1, 31, v0
	s_add_co_i32 s2, s2, 1
	v_add_nc_u64_e32 v[66:67], 4, v[66:67]
	s_delay_alu instid0(VALU_DEP_2)
	v_lshl_add_u64 v[0:1], v[0:1], 2, v[2:3]
	flat_store_b32 v[0:1], v7
	flat_load_b32 v0, v[64:65] offset:4
	s_wait_loadcnt_dscnt 0x0
	v_cmp_ge_i32_e32 vcc_lo, s2, v0
	v_mov_b32_e32 v0, v6
	s_or_b32 s1, vcc_lo, s1
	s_wait_xcnt 0x0
	s_and_not1_b32 exec_lo, exec_lo, s1
	s_cbranch_execz .LBB6_2185
.LBB6_2181:                             ; =>This Inner Loop Header: Depth=1
	flat_load_b32 v7, v[66:67]
	s_mov_b32 s3, exec_lo
                                        ; implicit-def: $vgpr6
	s_wait_loadcnt_dscnt 0x0
	v_and_b32_e32 v1, v7, v55
	s_wait_xcnt 0x0
	s_delay_alu instid0(VALU_DEP_1)
	v_cmpx_ne_u32_e32 0, v1
	s_xor_b32 s3, exec_lo, s3
	s_cbranch_execz .LBB6_2183
; %bb.2182:                             ;   in Loop: Header=BB6_2181 Depth=1
	v_add_nc_u32_e32 v6, 1, v0
	v_and_b32_e32 v7, v7, v4
	scratch_store_b32 off, v6, s33 offset:100
.LBB6_2183:                             ;   in Loop: Header=BB6_2181 Depth=1
	s_wait_xcnt 0x0
	s_or_saveexec_b32 s3, s3
	v_mov_b64_e32 v[2:3], v[70:71]
	v_mov_b32_e32 v8, v5
	s_xor_b32 exec_lo, exec_lo, s3
	s_cbranch_execz .LBB6_2180
; %bb.2184:                             ;   in Loop: Header=BB6_2181 Depth=1
	v_dual_add_nc_u32 v8, 1, v5 :: v_dual_mov_b32 v6, v0
	v_mov_b64_e32 v[2:3], v[82:83]
	s_delay_alu instid0(VALU_DEP_2)
	v_dual_mov_b32 v0, v5 :: v_dual_mov_b32 v5, v8
	scratch_store_b32 off, v8, s33 offset:116
	s_branch .LBB6_2180
.LBB6_2185:
	s_or_b32 exec_lo, exec_lo, s1
	v_cmp_eq_u32_e32 vcc_lo, 0, v8
	s_or_not1_b32 s2, vcc_lo, exec_lo
.LBB6_2186:
	v_writelane_b32 v73, s40, 0
	v_writelane_b32 v73, s24, 1
	;; [unrolled: 1-line block ×11, first 2 shown]
	s_or_b32 exec_lo, exec_lo, s0
	flat_load_b32 v0, v[68:69] offset:4
	v_mbcnt_lo_u32_b32 v45, -1, 0
	s_xor_b32 s71, s2, -1
	s_add_co_i32 s0, s33, 0x60
	v_dual_mov_b32 v1, 0 :: v_dual_mov_b32 v2, v41
	s_delay_alu instid0(VALU_DEP_2)
	v_dual_mov_b32 v58, s0 :: v_dual_lshlrev_b32 v59, 20, v45
	v_dual_mov_b32 v3, v42 :: v_dual_mov_b32 v4, v43
	s_get_pc_i64 s[0:1]
	s_add_nc_u64 s[0:1], s[0:1], _ZN3sop23sopFactorTrivialCubeRecEjiiPN8subgUtil4SubgILi256EEE@rel64+4
	s_mov_b64 s[8:9], s[52:53]
	v_add_nc_u64_e32 v[56:57], src_flat_scratch_base_lo, v[58:59]
	s_swap_pc_i64 s[30:31], s[0:1]
	s_delay_alu instid0(VALU_DEP_1) | instskip(NEXT) | instid1(VALU_DEP_2)
	v_dual_mov_b32 v40, v0 :: v_dual_mov_b32 v0, v56
	v_dual_mov_b32 v1, v57 :: v_dual_mov_b32 v2, v41
	;; [unrolled: 1-line block ×4, first 2 shown]
	s_get_pc_i64 s[34:35]
	s_add_nc_u64 s[34:35], s[34:35], _ZN3sop12sopFactorRecEPNS_3SopEiP7VecsMemIjLi8192EEPN8subgUtil4SubgILi256EEE@rel64+4
	s_mov_b64 s[8:9], s[52:53]
	s_swap_pc_i64 s[30:31], s[34:35]
	flat_load_b32 v2, v[42:43]
	s_mov_b32 s36, s69
	s_mov_b32 s0, exec_lo
	s_wait_loadcnt_dscnt 0x0
	v_cmpx_lt_i32_e32 0xff, v2
	s_xor_b32 s17, exec_lo, s0
	s_cbranch_execz .LBB6_2188
; %bb.2187:
	s_get_pc_i64 s[0:1]
	s_add_nc_u64 s[0:1], s[0:1], .str.43@rel64+4
	s_get_pc_i64 s[2:3]
	s_add_nc_u64 s[2:3], s[2:3], .str.44@rel64+4
	s_get_pc_i64 s[4:5]
	s_add_nc_u64 s[4:5], s[4:5], __PRETTY_FUNCTION__._ZN8subgUtil4SubgILi256EE10addNodeAndEii@rel64+4
	v_dual_mov_b32 v0, s0 :: v_dual_mov_b32 v1, s1
	v_dual_mov_b32 v2, s2 :: v_dual_mov_b32 v3, s3
	;; [unrolled: 1-line block ×3, first 2 shown]
	v_mov_b32_e32 v6, s5
	s_get_pc_i64 s[6:7]
	s_add_nc_u64 s[6:7], s[6:7], __assert_fail@rel64+4
	s_mov_b64 s[8:9], s[52:53]
	s_swap_pc_i64 s[30:31], s[6:7]
	s_or_b32 s36, s69, exec_lo
                                        ; implicit-def: $vgpr0
                                        ; implicit-def: $vgpr40
                                        ; implicit-def: $vgpr2
                                        ; implicit-def: $vgpr42_vgpr43
                                        ; implicit-def: $vgpr59
                                        ; implicit-def: $vgpr60_vgpr61
                                        ; implicit-def: $vgpr41
                                        ; implicit-def: $vgpr45
.LBB6_2188:
	s_or_saveexec_b32 s37, s17
	v_readlane_b32 s24, v73, 1
	v_readlane_b32 s20, v73, 10
	;; [unrolled: 1-line block ×11, first 2 shown]
	s_mov_b32 s0, 0
	s_mov_b32 s1, s24
                                        ; implicit-def: $vgpr44
	s_xor_b32 exec_lo, exec_lo, s37
	s_cbranch_execz .LBB6_2394
; %bb.2189:
	v_or_b32_e32 v1, v0, v40
	s_mov_b32 s0, -1
	s_mov_b32 s1, s24
	s_mov_b32 s2, s36
	s_mov_b32 s39, exec_lo
                                        ; implicit-def: $vgpr44
	v_cmpx_lt_i32_e32 -1, v1
	s_cbranch_execz .LBB6_2393
; %bb.2190:
	v_dual_ashrrev_i32 v3, 31, v2 :: v_dual_max_i32 v4, v40, v0
	v_dual_add_nc_u32 v6, 1, v2 :: v_dual_min_i32 v1, v40, v0
	s_mov_b32 s1, -1
	s_delay_alu instid0(VALU_DEP_2) | instskip(NEXT) | instid1(VALU_DEP_3)
	v_dual_lshlrev_b32 v0, 1, v4 :: v_dual_lshlrev_b32 v44, 1, v2
	v_lshl_add_u64 v[4:5], v[2:3], 3, v[42:43]
	s_mov_b32 s0, s36
	s_clause 0x1
	flat_store_b32 v[42:43], v6
	flat_store_b64 v[4:5], v[0:1] offset:8
	s_wait_xcnt 0x0
	s_and_saveexec_b32 s38, s71
	s_cbranch_execz .LBB6_2390
; %bb.2191:
	s_add_co_i32 s0, s33, 0x70
	v_dual_mov_b32 v3, v60 :: v_dual_mov_b32 v4, v61
	v_dual_mov_b32 v58, s0 :: v_dual_mov_b32 v2, v41
	;; [unrolled: 1-line block ×3, first 2 shown]
	s_mov_b64 s[8:9], s[52:53]
	s_delay_alu instid0(VALU_DEP_2)
	v_add_nc_u64_e32 v[0:1], src_flat_scratch_base_lo, v[58:59]
	s_mov_b32 s48, 0
	s_swap_pc_i64 s[30:31], s[34:35]
	flat_load_b32 v1, v[42:43]
	s_mov_b32 s17, s36
	s_mov_b32 s0, exec_lo
	s_wait_loadcnt_dscnt 0x0
	v_cmpx_lt_i32_e32 0xff, v1
	s_xor_b32 s18, exec_lo, s0
	s_cbranch_execz .LBB6_2193
; %bb.2192:
	s_get_pc_i64 s[0:1]
	s_add_nc_u64 s[0:1], s[0:1], .str.43@rel64+4
	s_get_pc_i64 s[2:3]
	s_add_nc_u64 s[2:3], s[2:3], .str.44@rel64+4
	s_get_pc_i64 s[4:5]
	s_add_nc_u64 s[4:5], s[4:5], __PRETTY_FUNCTION__._ZN8subgUtil4SubgILi256EE9addNodeOrEii@rel64+4
	v_dual_mov_b32 v0, s0 :: v_dual_mov_b32 v1, s1
	v_dual_mov_b32 v2, s2 :: v_dual_mov_b32 v3, s3
	;; [unrolled: 1-line block ×3, first 2 shown]
	v_mov_b32_e32 v6, s5
	s_get_pc_i64 s[6:7]
	s_add_nc_u64 s[6:7], s[6:7], __assert_fail@rel64+4
	s_mov_b64 s[8:9], s[52:53]
	s_swap_pc_i64 s[30:31], s[6:7]
	s_or_b32 s17, s36, exec_lo
                                        ; implicit-def: $vgpr0
                                        ; implicit-def: $vgpr44
                                        ; implicit-def: $vgpr42_vgpr43
                                        ; implicit-def: $vgpr45
.LBB6_2193:
	s_and_not1_saveexec_b32 s18, s18
	s_cbranch_execz .LBB6_2389
; %bb.2194:
	v_min_i32_e32 v5, v44, v0
	v_max_i32_e32 v4, v44, v0
	s_delay_alu instid0(VALU_DEP_2) | instskip(NEXT) | instid1(VALU_DEP_2)
	v_xor_b32_e32 v1, 1, v5
	v_xor_b32_e32 v38, 1, v4
	s_delay_alu instid0(VALU_DEP_1)
	v_cmp_gt_i32_e64 s0, v1, v38
	s_and_saveexec_b32 s16, s0
	s_cbranch_execz .LBB6_2384
; %bb.2195:
	s_load_b64 s[2:3], s[52:53], 0x50
	v_readfirstlane_b32 s1, v45
	v_mov_b64_e32 v[2:3], 0
	s_delay_alu instid0(VALU_DEP_2)
	v_cmp_eq_u32_e64 s1, s1, v45
	s_and_saveexec_b32 s4, s1
	s_cbranch_execz .LBB6_2201
; %bb.2196:
	v_mov_b32_e32 v6, 0
	s_mov_b32 s5, exec_lo
	s_wait_kmcnt 0x0
	global_load_b64 v[10:11], v6, s[2:3] offset:24 scope:SCOPE_SYS
	s_wait_loadcnt 0x0
	global_inv scope:SCOPE_SYS
	s_clause 0x1
	global_load_b64 v[2:3], v6, s[2:3] offset:40
	global_load_b64 v[8:9], v6, s[2:3]
	s_wait_loadcnt 0x1
	v_and_b32_e32 v2, v2, v10
	v_and_b32_e32 v3, v3, v11
	s_delay_alu instid0(VALU_DEP_1) | instskip(SKIP_1) | instid1(VALU_DEP_1)
	v_mul_u64_e32 v[2:3], 24, v[2:3]
	s_wait_loadcnt 0x0
	v_add_nc_u64_e32 v[2:3], v[8:9], v[2:3]
	global_load_b64 v[8:9], v[2:3], off scope:SCOPE_SYS
	s_wait_xcnt 0x0
	s_wait_loadcnt 0x0
	global_atomic_cmpswap_b64 v[2:3], v6, v[8:11], s[2:3] offset:24 th:TH_ATOMIC_RETURN scope:SCOPE_SYS
	s_wait_loadcnt 0x0
	global_inv scope:SCOPE_SYS
	s_wait_xcnt 0x0
	v_cmpx_ne_u64_e64 v[2:3], v[10:11]
	s_cbranch_execz .LBB6_2200
; %bb.2197:
	s_mov_b32 s6, 0
.LBB6_2198:                             ; =>This Inner Loop Header: Depth=1
	s_sleep 1
	s_clause 0x1
	global_load_b64 v[8:9], v6, s[2:3] offset:40
	global_load_b64 v[12:13], v6, s[2:3]
	v_mov_b64_e32 v[10:11], v[2:3]
	s_wait_loadcnt 0x1
	s_delay_alu instid0(VALU_DEP_1) | instskip(NEXT) | instid1(VALU_DEP_2)
	v_and_b32_e32 v2, v8, v10
	v_and_b32_e32 v7, v9, v11
	s_wait_loadcnt 0x0
	s_delay_alu instid0(VALU_DEP_2) | instskip(NEXT) | instid1(VALU_DEP_1)
	v_mad_nc_u64_u32 v[2:3], v2, 24, v[12:13]
	v_mad_u32 v3, v7, 24, v3
	global_load_b64 v[8:9], v[2:3], off scope:SCOPE_SYS
	s_wait_xcnt 0x0
	s_wait_loadcnt 0x0
	global_atomic_cmpswap_b64 v[2:3], v6, v[8:11], s[2:3] offset:24 th:TH_ATOMIC_RETURN scope:SCOPE_SYS
	s_wait_loadcnt 0x0
	global_inv scope:SCOPE_SYS
	v_cmp_eq_u64_e32 vcc_lo, v[2:3], v[10:11]
	s_or_b32 s6, vcc_lo, s6
	s_wait_xcnt 0x0
	s_and_not1_b32 exec_lo, exec_lo, s6
	s_cbranch_execnz .LBB6_2198
; %bb.2199:
	s_or_b32 exec_lo, exec_lo, s6
.LBB6_2200:
	s_delay_alu instid0(SALU_CYCLE_1)
	s_or_b32 exec_lo, exec_lo, s5
.LBB6_2201:
	s_delay_alu instid0(SALU_CYCLE_1)
	s_or_b32 exec_lo, exec_lo, s4
	v_readfirstlane_b32 s4, v2
	v_mov_b32_e32 v7, 0
	v_readfirstlane_b32 s5, v3
	s_mov_b32 s6, exec_lo
	s_wait_kmcnt 0x0
	s_clause 0x1
	global_load_b64 v[8:9], v7, s[2:3] offset:40
	global_load_b128 v[10:13], v7, s[2:3]
	s_wait_loadcnt 0x1
	v_and_b32_e32 v14, s4, v8
	v_and_b32_e32 v15, s5, v9
	s_delay_alu instid0(VALU_DEP_1) | instskip(SKIP_1) | instid1(VALU_DEP_1)
	v_mul_u64_e32 v[2:3], 24, v[14:15]
	s_wait_loadcnt 0x0
	v_add_nc_u64_e32 v[2:3], v[10:11], v[2:3]
	s_wait_xcnt 0x0
	s_and_saveexec_b32 s7, s1
	s_cbranch_execz .LBB6_2203
; %bb.2202:
	v_mov_b64_e32 v[8:9], 0x100000002
	v_mov_b32_e32 v6, s6
	global_store_b128 v[2:3], v[6:9], off offset:8
.LBB6_2203:
	s_wait_xcnt 0x0
	s_or_b32 exec_lo, exec_lo, s7
	v_lshlrev_b64_e32 v[8:9], 12, v[14:15]
	s_mov_b32 s8, 0
	v_dual_lshlrev_b32 v6, 6, v45 :: v_dual_mov_b32 v14, 33
	s_mov_b32 s10, s8
	s_mov_b32 s11, s8
	;; [unrolled: 1-line block ×3, first 2 shown]
	s_delay_alu instid0(VALU_DEP_2)
	v_add_nc_u64_e32 v[12:13], v[12:13], v[8:9]
	v_mov_b64_e32 v[20:21], s[10:11]
	v_mov_b64_e32 v[18:19], s[8:9]
	v_dual_mov_b32 v15, v7 :: v_dual_mov_b32 v16, v7
	v_mov_b32_e32 v17, v7
	v_readfirstlane_b32 s6, v12
	v_readfirstlane_b32 s7, v13
	s_clause 0x3
	global_store_b128 v6, v[14:17], s[6:7]
	global_store_b128 v6, v[18:21], s[6:7] offset:16
	global_store_b128 v6, v[18:21], s[6:7] offset:32
	;; [unrolled: 1-line block ×3, first 2 shown]
	s_wait_xcnt 0x0
	s_and_saveexec_b32 s6, s1
	s_cbranch_execz .LBB6_2210
; %bb.2204:
	v_dual_mov_b32 v16, 0 :: v_dual_mov_b32 v19, s5
	s_mov_b32 s7, exec_lo
	s_clause 0x1
	global_load_b64 v[20:21], v16, s[2:3] offset:32 scope:SCOPE_SYS
	global_load_b64 v[8:9], v16, s[2:3] offset:40
	s_wait_loadcnt 0x0
	v_dual_mov_b32 v18, s4 :: v_dual_bitop2_b32 v9, s5, v9 bitop3:0x40
	v_and_b32_e32 v8, s4, v8
	s_delay_alu instid0(VALU_DEP_1) | instskip(NEXT) | instid1(VALU_DEP_1)
	v_mul_u64_e32 v[8:9], 24, v[8:9]
	v_add_nc_u64_e32 v[14:15], v[10:11], v[8:9]
	global_store_b64 v[14:15], v[20:21], off
	global_wb scope:SCOPE_SYS
	s_wait_storecnt 0x0
	s_wait_xcnt 0x0
	global_atomic_cmpswap_b64 v[10:11], v16, v[18:21], s[2:3] offset:32 th:TH_ATOMIC_RETURN scope:SCOPE_SYS
	s_wait_loadcnt 0x0
	v_cmpx_ne_u64_e64 v[10:11], v[20:21]
	s_cbranch_execz .LBB6_2206
.LBB6_2205:                             ; =>This Inner Loop Header: Depth=1
	v_dual_mov_b32 v8, s4 :: v_dual_mov_b32 v9, s5
	s_sleep 1
	global_store_b64 v[14:15], v[10:11], off
	global_wb scope:SCOPE_SYS
	s_wait_storecnt 0x0
	s_wait_xcnt 0x0
	global_atomic_cmpswap_b64 v[8:9], v16, v[8:11], s[2:3] offset:32 th:TH_ATOMIC_RETURN scope:SCOPE_SYS
	s_wait_loadcnt 0x0
	v_cmp_eq_u64_e32 vcc_lo, v[8:9], v[10:11]
	v_mov_b64_e32 v[10:11], v[8:9]
	s_or_b32 s8, vcc_lo, s8
	s_delay_alu instid0(SALU_CYCLE_1)
	s_and_not1_b32 exec_lo, exec_lo, s8
	s_cbranch_execnz .LBB6_2205
.LBB6_2206:
	s_or_b32 exec_lo, exec_lo, s7
	v_mov_b32_e32 v11, 0
	s_mov_b32 s8, exec_lo
	s_mov_b32 s7, exec_lo
	v_mbcnt_lo_u32_b32 v10, s8, 0
	global_load_b64 v[8:9], v11, s[2:3] offset:16
	s_wait_xcnt 0x0
	v_cmpx_eq_u32_e32 0, v10
	s_cbranch_execz .LBB6_2208
; %bb.2207:
	s_bcnt1_i32_b32 s8, s8
	s_delay_alu instid0(SALU_CYCLE_1)
	v_mov_b32_e32 v10, s8
	global_wb scope:SCOPE_SYS
	s_wait_loadcnt 0x0
	s_wait_storecnt 0x0
	global_atomic_add_u64 v[8:9], v[10:11], off offset:8 scope:SCOPE_SYS
.LBB6_2208:
	s_wait_xcnt 0x0
	s_or_b32 exec_lo, exec_lo, s7
	s_wait_loadcnt 0x0
	global_load_b64 v[10:11], v[8:9], off offset:16
	s_wait_loadcnt 0x0
	v_cmp_eq_u64_e32 vcc_lo, 0, v[10:11]
	s_cbranch_vccnz .LBB6_2210
; %bb.2209:
	global_load_b32 v8, v[8:9], off offset:24
	s_wait_xcnt 0x0
	v_mov_b32_e32 v9, 0
	s_wait_loadcnt 0x0
	v_readfirstlane_b32 s7, v8
	global_wb scope:SCOPE_SYS
	s_wait_storecnt 0x0
	global_store_b64 v[10:11], v[8:9], off scope:SCOPE_SYS
	s_and_b32 m0, s7, 0xffffff
	s_sendmsg sendmsg(MSG_INTERRUPT)
.LBB6_2210:
	s_wait_xcnt 0x0
	s_or_b32 exec_lo, exec_lo, s6
	v_add_nc_u64_e32 v[8:9], v[12:13], v[6:7]
	s_branch .LBB6_2214
.LBB6_2211:                             ;   in Loop: Header=BB6_2214 Depth=1
	s_wait_xcnt 0x0
	s_or_b32 exec_lo, exec_lo, s6
	s_delay_alu instid0(VALU_DEP_1)
	v_readfirstlane_b32 s6, v7
	s_cmp_eq_u32 s6, 0
	s_cbranch_scc1 .LBB6_2213
; %bb.2212:                             ;   in Loop: Header=BB6_2214 Depth=1
	s_sleep 1
	s_cbranch_execnz .LBB6_2214
	s_branch .LBB6_2216
.LBB6_2213:
	s_branch .LBB6_2216
.LBB6_2214:                             ; =>This Inner Loop Header: Depth=1
	v_mov_b32_e32 v7, 1
	s_and_saveexec_b32 s6, s1
	s_cbranch_execz .LBB6_2211
; %bb.2215:                             ;   in Loop: Header=BB6_2214 Depth=1
	global_load_b32 v7, v[2:3], off offset:20 scope:SCOPE_SYS
	s_wait_loadcnt 0x0
	global_inv scope:SCOPE_SYS
	v_and_b32_e32 v7, 1, v7
	s_branch .LBB6_2211
.LBB6_2216:
	global_load_b64 v[8:9], v[8:9], off
	s_wait_xcnt 0x0
	s_and_saveexec_b32 s6, s1
	s_cbranch_execz .LBB6_2220
; %bb.2217:
	v_mov_b32_e32 v7, 0
	s_clause 0x2
	global_load_b64 v[2:3], v7, s[2:3] offset:40
	global_load_b64 v[14:15], v7, s[2:3] offset:24 scope:SCOPE_SYS
	global_load_b64 v[10:11], v7, s[2:3]
	s_wait_loadcnt 0x2
	v_readfirstlane_b32 s8, v2
	v_readfirstlane_b32 s9, v3
	s_add_nc_u64 s[10:11], s[8:9], 1
	s_delay_alu instid0(SALU_CYCLE_1) | instskip(NEXT) | instid1(SALU_CYCLE_1)
	s_add_nc_u64 s[4:5], s[10:11], s[4:5]
	s_cmp_eq_u64 s[4:5], 0
	s_cselect_b32 s5, s11, s5
	s_cselect_b32 s4, s10, s4
	v_mov_b32_e32 v13, s5
	s_and_b64 s[8:9], s[4:5], s[8:9]
	v_mov_b32_e32 v12, s4
	s_mul_u64 s[8:9], s[8:9], 24
	s_wait_loadcnt 0x0
	v_add_nc_u64_e32 v[2:3], s[8:9], v[10:11]
	global_store_b64 v[2:3], v[14:15], off
	global_wb scope:SCOPE_SYS
	s_wait_storecnt 0x0
	s_wait_xcnt 0x0
	global_atomic_cmpswap_b64 v[12:13], v7, v[12:15], s[2:3] offset:24 th:TH_ATOMIC_RETURN scope:SCOPE_SYS
	s_wait_loadcnt 0x0
	v_cmp_ne_u64_e32 vcc_lo, v[12:13], v[14:15]
	s_and_b32 exec_lo, exec_lo, vcc_lo
	s_cbranch_execz .LBB6_2220
; %bb.2218:
	s_mov_b32 s1, 0
.LBB6_2219:                             ; =>This Inner Loop Header: Depth=1
	v_dual_mov_b32 v10, s4 :: v_dual_mov_b32 v11, s5
	s_sleep 1
	global_store_b64 v[2:3], v[12:13], off
	global_wb scope:SCOPE_SYS
	s_wait_storecnt 0x0
	s_wait_xcnt 0x0
	global_atomic_cmpswap_b64 v[10:11], v7, v[10:13], s[2:3] offset:24 th:TH_ATOMIC_RETURN scope:SCOPE_SYS
	s_wait_loadcnt 0x0
	v_cmp_eq_u64_e32 vcc_lo, v[10:11], v[12:13]
	v_mov_b64_e32 v[12:13], v[10:11]
	s_or_b32 s1, vcc_lo, s1
	s_delay_alu instid0(SALU_CYCLE_1)
	s_and_not1_b32 exec_lo, exec_lo, s1
	s_cbranch_execnz .LBB6_2219
.LBB6_2220:
	s_or_b32 exec_lo, exec_lo, s6
	s_get_pc_i64 s[4:5]
	s_add_nc_u64 s[4:5], s[4:5], .str.45@rel64+4
	s_delay_alu instid0(SALU_CYCLE_1)
	s_cmp_lg_u64 s[4:5], 0
	s_cbranch_scc0 .LBB6_2306
; %bb.2221:
	v_mov_b64_e32 v[16:17], 0x100000002
	s_wait_loadcnt 0x0
	v_dual_mov_b32 v15, 0 :: v_dual_bitop2_b32 v2, 2, v8 bitop3:0x40
	v_dual_mov_b32 v11, v9 :: v_dual_bitop2_b32 v10, -3, v8 bitop3:0x40
	s_mov_b64 s[6:7], 7
	s_branch .LBB6_2223
.LBB6_2222:                             ;   in Loop: Header=BB6_2223 Depth=1
	s_or_b32 exec_lo, exec_lo, s12
	s_sub_nc_u64 s[6:7], s[6:7], s[8:9]
	s_add_nc_u64 s[4:5], s[4:5], s[8:9]
	s_cmp_lg_u64 s[6:7], 0
	s_cbranch_scc0 .LBB6_2305
.LBB6_2223:                             ; =>This Loop Header: Depth=1
                                        ;     Child Loop BB6_2226 Depth 2
                                        ;     Child Loop BB6_2234 Depth 2
	;; [unrolled: 1-line block ×11, first 2 shown]
	v_min_u64 v[12:13], s[6:7], 56
	v_cmp_gt_u64_e64 s1, s[6:7], 7
	s_and_b32 vcc_lo, exec_lo, s1
	v_readfirstlane_b32 s8, v12
	v_readfirstlane_b32 s9, v13
	s_cbranch_vccnz .LBB6_2228
; %bb.2224:                             ;   in Loop: Header=BB6_2223 Depth=1
	v_mov_b64_e32 v[12:13], 0
	s_cmp_eq_u64 s[6:7], 0
	s_cbranch_scc1 .LBB6_2227
; %bb.2225:                             ;   in Loop: Header=BB6_2223 Depth=1
	s_mov_b64 s[10:11], 0
	s_mov_b64 s[12:13], 0
.LBB6_2226:                             ;   Parent Loop BB6_2223 Depth=1
                                        ; =>  This Inner Loop Header: Depth=2
	s_wait_xcnt 0x0
	s_add_nc_u64 s[14:15], s[4:5], s[12:13]
	s_add_nc_u64 s[12:13], s[12:13], 1
	global_load_u8 v3, v15, s[14:15]
	s_cmp_lg_u32 s8, s12
	s_wait_loadcnt 0x0
	v_and_b32_e32 v14, 0xffff, v3
	s_delay_alu instid0(VALU_DEP_1) | instskip(SKIP_1) | instid1(VALU_DEP_1)
	v_lshlrev_b64_e32 v[18:19], s10, v[14:15]
	s_add_nc_u64 s[10:11], s[10:11], 8
	v_or_b32_e32 v12, v18, v12
	s_delay_alu instid0(VALU_DEP_2)
	v_or_b32_e32 v13, v19, v13
	s_cbranch_scc1 .LBB6_2226
.LBB6_2227:                             ;   in Loop: Header=BB6_2223 Depth=1
	s_mov_b32 s1, 0
	s_mov_b64 s[12:13], s[4:5]
	s_branch .LBB6_2229
.LBB6_2228:                             ;   in Loop: Header=BB6_2223 Depth=1
	s_add_nc_u64 s[12:13], s[4:5], 8
	s_mov_b32 s1, -1
.LBB6_2229:                             ;   in Loop: Header=BB6_2223 Depth=1
	s_delay_alu instid0(SALU_CYCLE_1)
	s_and_not1_b32 vcc_lo, exec_lo, s1
	s_mov_b32 s1, 0
	s_cbranch_vccnz .LBB6_2231
; %bb.2230:                             ;   in Loop: Header=BB6_2223 Depth=1
	global_load_b64 v[12:13], v15, s[4:5]
	s_add_co_i32 s1, s8, -8
.LBB6_2231:                             ;   in Loop: Header=BB6_2223 Depth=1
	s_delay_alu instid0(SALU_CYCLE_1)
	s_cmp_gt_u32 s1, 7
	s_cbranch_scc1 .LBB6_2236
; %bb.2232:                             ;   in Loop: Header=BB6_2223 Depth=1
	v_mov_b64_e32 v[18:19], 0
	s_cmp_eq_u32 s1, 0
	s_cbranch_scc1 .LBB6_2235
; %bb.2233:                             ;   in Loop: Header=BB6_2223 Depth=1
	s_mov_b64 s[10:11], 0
	s_wait_xcnt 0x0
	s_mov_b64 s[14:15], 0
.LBB6_2234:                             ;   Parent Loop BB6_2223 Depth=1
                                        ; =>  This Inner Loop Header: Depth=2
	s_wait_xcnt 0x0
	s_add_nc_u64 s[20:21], s[12:13], s[14:15]
	s_add_nc_u64 s[14:15], s[14:15], 1
	global_load_u8 v3, v15, s[20:21]
	s_cmp_lg_u32 s1, s14
	s_wait_loadcnt 0x0
	v_and_b32_e32 v14, 0xffff, v3
	s_delay_alu instid0(VALU_DEP_1) | instskip(SKIP_1) | instid1(VALU_DEP_1)
	v_lshlrev_b64_e32 v[20:21], s10, v[14:15]
	s_add_nc_u64 s[10:11], s[10:11], 8
	v_or_b32_e32 v18, v20, v18
	s_delay_alu instid0(VALU_DEP_2)
	v_or_b32_e32 v19, v21, v19
	s_cbranch_scc1 .LBB6_2234
.LBB6_2235:                             ;   in Loop: Header=BB6_2223 Depth=1
	s_wait_xcnt 0x0
	s_mov_b32 s14, 0
	s_mov_b64 s[10:11], s[12:13]
	s_branch .LBB6_2237
.LBB6_2236:                             ;   in Loop: Header=BB6_2223 Depth=1
	s_add_nc_u64 s[10:11], s[12:13], 8
	s_wait_xcnt 0x0
	s_mov_b32 s14, -1
                                        ; implicit-def: $vgpr18_vgpr19
.LBB6_2237:                             ;   in Loop: Header=BB6_2223 Depth=1
	s_delay_alu instid0(SALU_CYCLE_1)
	s_and_not1_b32 vcc_lo, exec_lo, s14
	s_mov_b32 s19, 0
	s_cbranch_vccnz .LBB6_2239
; %bb.2238:                             ;   in Loop: Header=BB6_2223 Depth=1
	global_load_b64 v[18:19], v15, s[12:13]
	s_add_co_i32 s19, s1, -8
.LBB6_2239:                             ;   in Loop: Header=BB6_2223 Depth=1
	s_delay_alu instid0(SALU_CYCLE_1)
	s_cmp_gt_u32 s19, 7
	s_cbranch_scc1 .LBB6_2244
; %bb.2240:                             ;   in Loop: Header=BB6_2223 Depth=1
	v_mov_b64_e32 v[20:21], 0
	s_cmp_eq_u32 s19, 0
	s_cbranch_scc1 .LBB6_2243
; %bb.2241:                             ;   in Loop: Header=BB6_2223 Depth=1
	s_wait_xcnt 0x0
	s_mov_b64 s[12:13], 0
	s_mov_b64 s[14:15], 0
.LBB6_2242:                             ;   Parent Loop BB6_2223 Depth=1
                                        ; =>  This Inner Loop Header: Depth=2
	s_wait_xcnt 0x0
	s_add_nc_u64 s[20:21], s[10:11], s[14:15]
	s_add_nc_u64 s[14:15], s[14:15], 1
	global_load_u8 v3, v15, s[20:21]
	s_cmp_lg_u32 s19, s14
	s_wait_loadcnt 0x0
	v_and_b32_e32 v14, 0xffff, v3
	s_delay_alu instid0(VALU_DEP_1) | instskip(SKIP_1) | instid1(VALU_DEP_1)
	v_lshlrev_b64_e32 v[22:23], s12, v[14:15]
	s_add_nc_u64 s[12:13], s[12:13], 8
	v_or_b32_e32 v20, v22, v20
	s_delay_alu instid0(VALU_DEP_2)
	v_or_b32_e32 v21, v23, v21
	s_cbranch_scc1 .LBB6_2242
.LBB6_2243:                             ;   in Loop: Header=BB6_2223 Depth=1
	s_mov_b32 s1, 0
	s_wait_xcnt 0x0
	s_mov_b64 s[12:13], s[10:11]
	s_branch .LBB6_2245
.LBB6_2244:                             ;   in Loop: Header=BB6_2223 Depth=1
	s_wait_xcnt 0x0
	s_add_nc_u64 s[12:13], s[10:11], 8
	s_mov_b32 s1, -1
.LBB6_2245:                             ;   in Loop: Header=BB6_2223 Depth=1
	s_delay_alu instid0(SALU_CYCLE_1)
	s_and_not1_b32 vcc_lo, exec_lo, s1
	s_mov_b32 s1, 0
	s_cbranch_vccnz .LBB6_2247
; %bb.2246:                             ;   in Loop: Header=BB6_2223 Depth=1
	global_load_b64 v[20:21], v15, s[10:11]
	s_add_co_i32 s1, s19, -8
.LBB6_2247:                             ;   in Loop: Header=BB6_2223 Depth=1
	s_delay_alu instid0(SALU_CYCLE_1)
	s_cmp_gt_u32 s1, 7
	s_cbranch_scc1 .LBB6_2252
; %bb.2248:                             ;   in Loop: Header=BB6_2223 Depth=1
	v_mov_b64_e32 v[22:23], 0
	s_cmp_eq_u32 s1, 0
	s_cbranch_scc1 .LBB6_2251
; %bb.2249:                             ;   in Loop: Header=BB6_2223 Depth=1
	s_wait_xcnt 0x0
	s_mov_b64 s[10:11], 0
	s_mov_b64 s[14:15], 0
.LBB6_2250:                             ;   Parent Loop BB6_2223 Depth=1
                                        ; =>  This Inner Loop Header: Depth=2
	s_wait_xcnt 0x0
	s_add_nc_u64 s[20:21], s[12:13], s[14:15]
	s_add_nc_u64 s[14:15], s[14:15], 1
	global_load_u8 v3, v15, s[20:21]
	s_cmp_lg_u32 s1, s14
	s_wait_loadcnt 0x0
	v_and_b32_e32 v14, 0xffff, v3
	s_delay_alu instid0(VALU_DEP_1) | instskip(SKIP_1) | instid1(VALU_DEP_1)
	v_lshlrev_b64_e32 v[24:25], s10, v[14:15]
	s_add_nc_u64 s[10:11], s[10:11], 8
	v_or_b32_e32 v22, v24, v22
	s_delay_alu instid0(VALU_DEP_2)
	v_or_b32_e32 v23, v25, v23
	s_cbranch_scc1 .LBB6_2250
.LBB6_2251:                             ;   in Loop: Header=BB6_2223 Depth=1
	s_mov_b32 s14, 0
	s_wait_xcnt 0x0
	s_mov_b64 s[10:11], s[12:13]
	s_branch .LBB6_2253
.LBB6_2252:                             ;   in Loop: Header=BB6_2223 Depth=1
	s_wait_xcnt 0x0
	s_add_nc_u64 s[10:11], s[12:13], 8
	s_mov_b32 s14, -1
                                        ; implicit-def: $vgpr22_vgpr23
.LBB6_2253:                             ;   in Loop: Header=BB6_2223 Depth=1
	s_delay_alu instid0(SALU_CYCLE_1)
	s_and_not1_b32 vcc_lo, exec_lo, s14
	s_mov_b32 s19, 0
	s_cbranch_vccnz .LBB6_2255
; %bb.2254:                             ;   in Loop: Header=BB6_2223 Depth=1
	global_load_b64 v[22:23], v15, s[12:13]
	s_add_co_i32 s19, s1, -8
.LBB6_2255:                             ;   in Loop: Header=BB6_2223 Depth=1
	s_delay_alu instid0(SALU_CYCLE_1)
	s_cmp_gt_u32 s19, 7
	s_cbranch_scc1 .LBB6_2260
; %bb.2256:                             ;   in Loop: Header=BB6_2223 Depth=1
	v_mov_b64_e32 v[24:25], 0
	s_cmp_eq_u32 s19, 0
	s_cbranch_scc1 .LBB6_2259
; %bb.2257:                             ;   in Loop: Header=BB6_2223 Depth=1
	s_wait_xcnt 0x0
	s_mov_b64 s[12:13], 0
	s_mov_b64 s[14:15], 0
.LBB6_2258:                             ;   Parent Loop BB6_2223 Depth=1
                                        ; =>  This Inner Loop Header: Depth=2
	s_wait_xcnt 0x0
	s_add_nc_u64 s[20:21], s[10:11], s[14:15]
	s_add_nc_u64 s[14:15], s[14:15], 1
	global_load_u8 v3, v15, s[20:21]
	s_cmp_lg_u32 s19, s14
	s_wait_loadcnt 0x0
	v_and_b32_e32 v14, 0xffff, v3
	s_delay_alu instid0(VALU_DEP_1) | instskip(SKIP_1) | instid1(VALU_DEP_1)
	v_lshlrev_b64_e32 v[26:27], s12, v[14:15]
	s_add_nc_u64 s[12:13], s[12:13], 8
	v_or_b32_e32 v24, v26, v24
	s_delay_alu instid0(VALU_DEP_2)
	v_or_b32_e32 v25, v27, v25
	s_cbranch_scc1 .LBB6_2258
.LBB6_2259:                             ;   in Loop: Header=BB6_2223 Depth=1
	s_mov_b32 s1, 0
	s_wait_xcnt 0x0
	s_mov_b64 s[12:13], s[10:11]
	s_branch .LBB6_2261
.LBB6_2260:                             ;   in Loop: Header=BB6_2223 Depth=1
	s_wait_xcnt 0x0
	s_add_nc_u64 s[12:13], s[10:11], 8
	s_mov_b32 s1, -1
.LBB6_2261:                             ;   in Loop: Header=BB6_2223 Depth=1
	s_delay_alu instid0(SALU_CYCLE_1)
	s_and_not1_b32 vcc_lo, exec_lo, s1
	s_mov_b32 s1, 0
	s_cbranch_vccnz .LBB6_2263
; %bb.2262:                             ;   in Loop: Header=BB6_2223 Depth=1
	global_load_b64 v[24:25], v15, s[10:11]
	s_add_co_i32 s1, s19, -8
.LBB6_2263:                             ;   in Loop: Header=BB6_2223 Depth=1
	s_delay_alu instid0(SALU_CYCLE_1)
	s_cmp_gt_u32 s1, 7
	s_cbranch_scc1 .LBB6_2268
; %bb.2264:                             ;   in Loop: Header=BB6_2223 Depth=1
	v_mov_b64_e32 v[26:27], 0
	s_cmp_eq_u32 s1, 0
	s_cbranch_scc1 .LBB6_2267
; %bb.2265:                             ;   in Loop: Header=BB6_2223 Depth=1
	s_wait_xcnt 0x0
	s_mov_b64 s[10:11], 0
	s_mov_b64 s[14:15], 0
.LBB6_2266:                             ;   Parent Loop BB6_2223 Depth=1
                                        ; =>  This Inner Loop Header: Depth=2
	s_wait_xcnt 0x0
	s_add_nc_u64 s[20:21], s[12:13], s[14:15]
	s_add_nc_u64 s[14:15], s[14:15], 1
	global_load_u8 v3, v15, s[20:21]
	s_cmp_lg_u32 s1, s14
	s_wait_loadcnt 0x0
	v_and_b32_e32 v14, 0xffff, v3
	s_delay_alu instid0(VALU_DEP_1) | instskip(SKIP_1) | instid1(VALU_DEP_1)
	v_lshlrev_b64_e32 v[28:29], s10, v[14:15]
	s_add_nc_u64 s[10:11], s[10:11], 8
	v_or_b32_e32 v26, v28, v26
	s_delay_alu instid0(VALU_DEP_2)
	v_or_b32_e32 v27, v29, v27
	s_cbranch_scc1 .LBB6_2266
.LBB6_2267:                             ;   in Loop: Header=BB6_2223 Depth=1
	s_mov_b32 s14, 0
	s_wait_xcnt 0x0
	s_mov_b64 s[10:11], s[12:13]
	s_branch .LBB6_2269
.LBB6_2268:                             ;   in Loop: Header=BB6_2223 Depth=1
	s_wait_xcnt 0x0
	s_add_nc_u64 s[10:11], s[12:13], 8
	s_mov_b32 s14, -1
                                        ; implicit-def: $vgpr26_vgpr27
.LBB6_2269:                             ;   in Loop: Header=BB6_2223 Depth=1
	s_delay_alu instid0(SALU_CYCLE_1)
	s_and_not1_b32 vcc_lo, exec_lo, s14
	s_mov_b32 s19, 0
	s_cbranch_vccnz .LBB6_2271
; %bb.2270:                             ;   in Loop: Header=BB6_2223 Depth=1
	global_load_b64 v[26:27], v15, s[12:13]
	s_add_co_i32 s19, s1, -8
.LBB6_2271:                             ;   in Loop: Header=BB6_2223 Depth=1
	s_delay_alu instid0(SALU_CYCLE_1)
	s_cmp_gt_u32 s19, 7
	s_cbranch_scc1 .LBB6_2276
; %bb.2272:                             ;   in Loop: Header=BB6_2223 Depth=1
	v_mov_b64_e32 v[28:29], 0
	s_cmp_eq_u32 s19, 0
	s_cbranch_scc1 .LBB6_2275
; %bb.2273:                             ;   in Loop: Header=BB6_2223 Depth=1
	s_wait_xcnt 0x0
	s_mov_b64 s[12:13], 0
	s_mov_b64 s[14:15], s[10:11]
.LBB6_2274:                             ;   Parent Loop BB6_2223 Depth=1
                                        ; =>  This Inner Loop Header: Depth=2
	global_load_u8 v3, v15, s[14:15]
	s_add_co_i32 s19, s19, -1
	s_wait_xcnt 0x0
	s_add_nc_u64 s[14:15], s[14:15], 1
	s_cmp_lg_u32 s19, 0
	s_wait_loadcnt 0x0
	v_and_b32_e32 v14, 0xffff, v3
	s_delay_alu instid0(VALU_DEP_1) | instskip(SKIP_1) | instid1(VALU_DEP_1)
	v_lshlrev_b64_e32 v[30:31], s12, v[14:15]
	s_add_nc_u64 s[12:13], s[12:13], 8
	v_or_b32_e32 v28, v30, v28
	s_delay_alu instid0(VALU_DEP_2)
	v_or_b32_e32 v29, v31, v29
	s_cbranch_scc1 .LBB6_2274
.LBB6_2275:                             ;   in Loop: Header=BB6_2223 Depth=1
	s_mov_b32 s1, 0
	s_branch .LBB6_2277
.LBB6_2276:                             ;   in Loop: Header=BB6_2223 Depth=1
	s_mov_b32 s1, -1
.LBB6_2277:                             ;   in Loop: Header=BB6_2223 Depth=1
	s_delay_alu instid0(SALU_CYCLE_1)
	s_and_not1_b32 vcc_lo, exec_lo, s1
	s_cbranch_vccnz .LBB6_2279
; %bb.2278:                             ;   in Loop: Header=BB6_2223 Depth=1
	global_load_b64 v[28:29], v15, s[10:11]
.LBB6_2279:                             ;   in Loop: Header=BB6_2223 Depth=1
	v_readfirstlane_b32 s1, v45
	v_mov_b64_e32 v[34:35], 0
	s_delay_alu instid0(VALU_DEP_2)
	v_cmp_eq_u32_e64 s1, s1, v45
	s_wait_xcnt 0x0
	s_and_saveexec_b32 s10, s1
	s_cbranch_execz .LBB6_2285
; %bb.2280:                             ;   in Loop: Header=BB6_2223 Depth=1
	global_load_b64 v[32:33], v15, s[2:3] offset:24 scope:SCOPE_SYS
	s_wait_loadcnt 0x0
	global_inv scope:SCOPE_SYS
	s_clause 0x1
	global_load_b64 v[30:31], v15, s[2:3] offset:40
	global_load_b64 v[34:35], v15, s[2:3]
	s_mov_b32 s11, exec_lo
	s_wait_loadcnt 0x1
	v_and_b32_e32 v30, v30, v32
	v_and_b32_e32 v31, v31, v33
	s_delay_alu instid0(VALU_DEP_1) | instskip(SKIP_1) | instid1(VALU_DEP_1)
	v_mul_u64_e32 v[30:31], 24, v[30:31]
	s_wait_loadcnt 0x0
	v_add_nc_u64_e32 v[30:31], v[34:35], v[30:31]
	global_load_b64 v[30:31], v[30:31], off scope:SCOPE_SYS
	s_wait_xcnt 0x0
	s_wait_loadcnt 0x0
	global_atomic_cmpswap_b64 v[34:35], v15, v[30:33], s[2:3] offset:24 th:TH_ATOMIC_RETURN scope:SCOPE_SYS
	s_wait_loadcnt 0x0
	global_inv scope:SCOPE_SYS
	s_wait_xcnt 0x0
	v_cmpx_ne_u64_e64 v[34:35], v[32:33]
	s_cbranch_execz .LBB6_2284
; %bb.2281:                             ;   in Loop: Header=BB6_2223 Depth=1
	s_mov_b32 s12, 0
.LBB6_2282:                             ;   Parent Loop BB6_2223 Depth=1
                                        ; =>  This Inner Loop Header: Depth=2
	s_sleep 1
	s_clause 0x1
	global_load_b64 v[30:31], v15, s[2:3] offset:40
	global_load_b64 v[36:37], v15, s[2:3]
	v_mov_b64_e32 v[32:33], v[34:35]
	s_wait_loadcnt 0x1
	s_delay_alu instid0(VALU_DEP_1) | instskip(SKIP_1) | instid1(VALU_DEP_1)
	v_and_b32_e32 v3, v30, v32
	s_wait_loadcnt 0x0
	v_mad_nc_u64_u32 v[34:35], v3, 24, v[36:37]
	s_delay_alu instid0(VALU_DEP_3) | instskip(NEXT) | instid1(VALU_DEP_1)
	v_and_b32_e32 v3, v31, v33
	v_mad_u32 v35, v3, 24, v35
	global_load_b64 v[30:31], v[34:35], off scope:SCOPE_SYS
	s_wait_xcnt 0x0
	s_wait_loadcnt 0x0
	global_atomic_cmpswap_b64 v[34:35], v15, v[30:33], s[2:3] offset:24 th:TH_ATOMIC_RETURN scope:SCOPE_SYS
	s_wait_loadcnt 0x0
	global_inv scope:SCOPE_SYS
	v_cmp_eq_u64_e32 vcc_lo, v[34:35], v[32:33]
	s_or_b32 s12, vcc_lo, s12
	s_wait_xcnt 0x0
	s_and_not1_b32 exec_lo, exec_lo, s12
	s_cbranch_execnz .LBB6_2282
; %bb.2283:                             ;   in Loop: Header=BB6_2223 Depth=1
	s_or_b32 exec_lo, exec_lo, s12
.LBB6_2284:                             ;   in Loop: Header=BB6_2223 Depth=1
	s_delay_alu instid0(SALU_CYCLE_1)
	s_or_b32 exec_lo, exec_lo, s11
.LBB6_2285:                             ;   in Loop: Header=BB6_2223 Depth=1
	s_delay_alu instid0(SALU_CYCLE_1)
	s_or_b32 exec_lo, exec_lo, s10
	s_clause 0x1
	global_load_b64 v[36:37], v15, s[2:3] offset:40
	global_load_b128 v[30:33], v15, s[2:3]
	v_readfirstlane_b32 s10, v34
	v_readfirstlane_b32 s11, v35
	s_mov_b32 s12, exec_lo
	s_wait_loadcnt 0x1
	v_and_b32_e32 v36, s10, v36
	v_and_b32_e32 v37, s11, v37
	s_delay_alu instid0(VALU_DEP_1) | instskip(SKIP_1) | instid1(VALU_DEP_1)
	v_mul_u64_e32 v[34:35], 24, v[36:37]
	s_wait_loadcnt 0x0
	v_add_nc_u64_e32 v[34:35], v[30:31], v[34:35]
	s_wait_xcnt 0x0
	s_and_saveexec_b32 s13, s1
	s_cbranch_execz .LBB6_2287
; %bb.2286:                             ;   in Loop: Header=BB6_2223 Depth=1
	v_mov_b32_e32 v14, s12
	global_store_b128 v[34:35], v[14:17], off offset:8
.LBB6_2287:                             ;   in Loop: Header=BB6_2223 Depth=1
	s_wait_xcnt 0x0
	s_or_b32 exec_lo, exec_lo, s13
	v_cmp_lt_u64_e64 vcc_lo, s[6:7], 57
	v_lshlrev_b64_e32 v[36:37], 12, v[36:37]
	v_and_b32_e32 v7, 0xffffff1f, v10
	s_lshl_b32 s12, s8, 2
	s_delay_alu instid0(SALU_CYCLE_1) | instskip(SKIP_1) | instid1(VALU_DEP_3)
	s_add_co_i32 s12, s12, 28
	v_cndmask_b32_e32 v3, 0, v2, vcc_lo
	v_add_nc_u64_e32 v[32:33], v[32:33], v[36:37]
	s_delay_alu instid0(VALU_DEP_2) | instskip(NEXT) | instid1(VALU_DEP_2)
	v_or_b32_e32 v3, v7, v3
	v_readfirstlane_b32 s13, v33
	s_delay_alu instid0(VALU_DEP_2) | instskip(NEXT) | instid1(VALU_DEP_4)
	v_and_or_b32 v10, 0x1e0, s12, v3
	v_readfirstlane_b32 s12, v32
	s_clause 0x3
	global_store_b128 v6, v[10:13], s[12:13]
	global_store_b128 v6, v[18:21], s[12:13] offset:16
	global_store_b128 v6, v[22:25], s[12:13] offset:32
	;; [unrolled: 1-line block ×3, first 2 shown]
	s_wait_xcnt 0x0
	s_and_saveexec_b32 s12, s1
	s_cbranch_execz .LBB6_2295
; %bb.2288:                             ;   in Loop: Header=BB6_2223 Depth=1
	s_clause 0x1
	global_load_b64 v[22:23], v15, s[2:3] offset:32 scope:SCOPE_SYS
	global_load_b64 v[10:11], v15, s[2:3] offset:40
	s_mov_b32 s13, exec_lo
	v_dual_mov_b32 v20, s10 :: v_dual_mov_b32 v21, s11
	s_wait_loadcnt 0x0
	v_and_b32_e32 v11, s11, v11
	v_and_b32_e32 v10, s10, v10
	s_delay_alu instid0(VALU_DEP_1) | instskip(NEXT) | instid1(VALU_DEP_1)
	v_mul_u64_e32 v[10:11], 24, v[10:11]
	v_add_nc_u64_e32 v[18:19], v[30:31], v[10:11]
	global_store_b64 v[18:19], v[22:23], off
	global_wb scope:SCOPE_SYS
	s_wait_storecnt 0x0
	s_wait_xcnt 0x0
	global_atomic_cmpswap_b64 v[12:13], v15, v[20:23], s[2:3] offset:32 th:TH_ATOMIC_RETURN scope:SCOPE_SYS
	s_wait_loadcnt 0x0
	v_cmpx_ne_u64_e64 v[12:13], v[22:23]
	s_cbranch_execz .LBB6_2291
; %bb.2289:                             ;   in Loop: Header=BB6_2223 Depth=1
	s_mov_b32 s14, 0
.LBB6_2290:                             ;   Parent Loop BB6_2223 Depth=1
                                        ; =>  This Inner Loop Header: Depth=2
	v_dual_mov_b32 v10, s10 :: v_dual_mov_b32 v11, s11
	s_sleep 1
	global_store_b64 v[18:19], v[12:13], off
	global_wb scope:SCOPE_SYS
	s_wait_storecnt 0x0
	s_wait_xcnt 0x0
	global_atomic_cmpswap_b64 v[10:11], v15, v[10:13], s[2:3] offset:32 th:TH_ATOMIC_RETURN scope:SCOPE_SYS
	s_wait_loadcnt 0x0
	v_cmp_eq_u64_e32 vcc_lo, v[10:11], v[12:13]
	v_mov_b64_e32 v[12:13], v[10:11]
	s_or_b32 s14, vcc_lo, s14
	s_delay_alu instid0(SALU_CYCLE_1)
	s_and_not1_b32 exec_lo, exec_lo, s14
	s_cbranch_execnz .LBB6_2290
.LBB6_2291:                             ;   in Loop: Header=BB6_2223 Depth=1
	s_or_b32 exec_lo, exec_lo, s13
	global_load_b64 v[10:11], v15, s[2:3] offset:16
	s_mov_b32 s14, exec_lo
	s_mov_b32 s13, exec_lo
	v_mbcnt_lo_u32_b32 v3, s14, 0
	s_wait_xcnt 0x0
	s_delay_alu instid0(VALU_DEP_1)
	v_cmpx_eq_u32_e32 0, v3
	s_cbranch_execz .LBB6_2293
; %bb.2292:                             ;   in Loop: Header=BB6_2223 Depth=1
	s_bcnt1_i32_b32 s14, s14
	s_delay_alu instid0(SALU_CYCLE_1)
	v_mov_b32_e32 v14, s14
	global_wb scope:SCOPE_SYS
	s_wait_loadcnt 0x0
	s_wait_storecnt 0x0
	global_atomic_add_u64 v[10:11], v[14:15], off offset:8 scope:SCOPE_SYS
.LBB6_2293:                             ;   in Loop: Header=BB6_2223 Depth=1
	s_wait_xcnt 0x0
	s_or_b32 exec_lo, exec_lo, s13
	s_wait_loadcnt 0x0
	global_load_b64 v[12:13], v[10:11], off offset:16
	s_wait_loadcnt 0x0
	v_cmp_eq_u64_e32 vcc_lo, 0, v[12:13]
	s_cbranch_vccnz .LBB6_2295
; %bb.2294:                             ;   in Loop: Header=BB6_2223 Depth=1
	global_load_b32 v14, v[10:11], off offset:24
	s_wait_loadcnt 0x0
	v_readfirstlane_b32 s13, v14
	global_wb scope:SCOPE_SYS
	s_wait_storecnt 0x0
	s_wait_xcnt 0x0
	global_store_b64 v[12:13], v[14:15], off scope:SCOPE_SYS
	s_and_b32 m0, s13, 0xffffff
	s_sendmsg sendmsg(MSG_INTERRUPT)
.LBB6_2295:                             ;   in Loop: Header=BB6_2223 Depth=1
	s_wait_xcnt 0x0
	s_or_b32 exec_lo, exec_lo, s12
	v_mov_b32_e32 v7, v15
	s_delay_alu instid0(VALU_DEP_1)
	v_add_nc_u64_e32 v[10:11], v[32:33], v[6:7]
	s_branch .LBB6_2299
.LBB6_2296:                             ;   in Loop: Header=BB6_2299 Depth=2
	s_wait_xcnt 0x0
	s_or_b32 exec_lo, exec_lo, s12
	s_delay_alu instid0(VALU_DEP_1)
	v_readfirstlane_b32 s12, v3
	s_cmp_eq_u32 s12, 0
	s_cbranch_scc1 .LBB6_2298
; %bb.2297:                             ;   in Loop: Header=BB6_2299 Depth=2
	s_sleep 1
	s_cbranch_execnz .LBB6_2299
	s_branch .LBB6_2301
.LBB6_2298:                             ;   in Loop: Header=BB6_2223 Depth=1
	s_branch .LBB6_2301
.LBB6_2299:                             ;   Parent Loop BB6_2223 Depth=1
                                        ; =>  This Inner Loop Header: Depth=2
	v_mov_b32_e32 v3, 1
	s_and_saveexec_b32 s12, s1
	s_cbranch_execz .LBB6_2296
; %bb.2300:                             ;   in Loop: Header=BB6_2299 Depth=2
	global_load_b32 v3, v[34:35], off offset:20 scope:SCOPE_SYS
	s_wait_loadcnt 0x0
	global_inv scope:SCOPE_SYS
	v_and_b32_e32 v3, 1, v3
	s_branch .LBB6_2296
.LBB6_2301:                             ;   in Loop: Header=BB6_2223 Depth=1
	global_load_b64 v[10:11], v[10:11], off
	s_wait_xcnt 0x0
	s_and_saveexec_b32 s12, s1
	s_cbranch_execz .LBB6_2222
; %bb.2302:                             ;   in Loop: Header=BB6_2223 Depth=1
	s_clause 0x2
	global_load_b64 v[12:13], v15, s[2:3] offset:40
	global_load_b64 v[22:23], v15, s[2:3] offset:24 scope:SCOPE_SYS
	global_load_b64 v[18:19], v15, s[2:3]
	s_wait_loadcnt 0x2
	v_readfirstlane_b32 s14, v12
	v_readfirstlane_b32 s15, v13
	s_add_nc_u64 s[20:21], s[14:15], 1
	s_delay_alu instid0(SALU_CYCLE_1) | instskip(NEXT) | instid1(SALU_CYCLE_1)
	s_add_nc_u64 s[10:11], s[20:21], s[10:11]
	s_cmp_eq_u64 s[10:11], 0
	s_cselect_b32 s11, s21, s11
	s_cselect_b32 s10, s20, s10
	s_delay_alu instid0(SALU_CYCLE_1) | instskip(SKIP_1) | instid1(SALU_CYCLE_1)
	v_dual_mov_b32 v21, s11 :: v_dual_mov_b32 v20, s10
	s_and_b64 s[14:15], s[10:11], s[14:15]
	s_mul_u64 s[14:15], s[14:15], 24
	s_wait_loadcnt 0x0
	v_add_nc_u64_e32 v[12:13], s[14:15], v[18:19]
	global_store_b64 v[12:13], v[22:23], off
	global_wb scope:SCOPE_SYS
	s_wait_storecnt 0x0
	s_wait_xcnt 0x0
	global_atomic_cmpswap_b64 v[20:21], v15, v[20:23], s[2:3] offset:24 th:TH_ATOMIC_RETURN scope:SCOPE_SYS
	s_wait_loadcnt 0x0
	v_cmp_ne_u64_e32 vcc_lo, v[20:21], v[22:23]
	s_and_b32 exec_lo, exec_lo, vcc_lo
	s_cbranch_execz .LBB6_2222
; %bb.2303:                             ;   in Loop: Header=BB6_2223 Depth=1
	s_mov_b32 s1, 0
.LBB6_2304:                             ;   Parent Loop BB6_2223 Depth=1
                                        ; =>  This Inner Loop Header: Depth=2
	v_dual_mov_b32 v18, s10 :: v_dual_mov_b32 v19, s11
	s_sleep 1
	global_store_b64 v[12:13], v[20:21], off
	global_wb scope:SCOPE_SYS
	s_wait_storecnt 0x0
	s_wait_xcnt 0x0
	global_atomic_cmpswap_b64 v[18:19], v15, v[18:21], s[2:3] offset:24 th:TH_ATOMIC_RETURN scope:SCOPE_SYS
	s_wait_loadcnt 0x0
	v_cmp_eq_u64_e32 vcc_lo, v[18:19], v[20:21]
	v_mov_b64_e32 v[20:21], v[18:19]
	s_or_b32 s1, vcc_lo, s1
	s_delay_alu instid0(SALU_CYCLE_1)
	s_and_not1_b32 exec_lo, exec_lo, s1
	s_cbranch_execnz .LBB6_2304
	s_branch .LBB6_2222
.LBB6_2305:
	s_mov_b32 s1, 0
	s_branch .LBB6_2307
.LBB6_2306:
	s_mov_b32 s1, -1
                                        ; implicit-def: $vgpr10_vgpr11
.LBB6_2307:
	s_delay_alu instid0(SALU_CYCLE_1)
	s_and_b32 vcc_lo, exec_lo, s1
	s_cbranch_vccz .LBB6_2334
; %bb.2308:
	v_readfirstlane_b32 s1, v45
	v_mov_b64_e32 v[2:3], 0
	s_delay_alu instid0(VALU_DEP_2)
	v_cmp_eq_u32_e64 s1, s1, v45
	s_and_saveexec_b32 s4, s1
	s_cbranch_execz .LBB6_2314
; %bb.2309:
	v_mov_b32_e32 v7, 0
	s_mov_b32 s5, exec_lo
	global_load_b64 v[12:13], v7, s[2:3] offset:24 scope:SCOPE_SYS
	s_wait_loadcnt 0x0
	global_inv scope:SCOPE_SYS
	s_clause 0x1
	global_load_b64 v[2:3], v7, s[2:3] offset:40
	global_load_b64 v[10:11], v7, s[2:3]
	s_wait_loadcnt 0x1
	v_and_b32_e32 v2, v2, v12
	v_and_b32_e32 v3, v3, v13
	s_delay_alu instid0(VALU_DEP_1) | instskip(SKIP_1) | instid1(VALU_DEP_1)
	v_mul_u64_e32 v[2:3], 24, v[2:3]
	s_wait_loadcnt 0x0
	v_add_nc_u64_e32 v[2:3], v[10:11], v[2:3]
	global_load_b64 v[10:11], v[2:3], off scope:SCOPE_SYS
	s_wait_xcnt 0x0
	s_wait_loadcnt 0x0
	global_atomic_cmpswap_b64 v[2:3], v7, v[10:13], s[2:3] offset:24 th:TH_ATOMIC_RETURN scope:SCOPE_SYS
	s_wait_loadcnt 0x0
	global_inv scope:SCOPE_SYS
	s_wait_xcnt 0x0
	v_cmpx_ne_u64_e64 v[2:3], v[12:13]
	s_cbranch_execz .LBB6_2313
; %bb.2310:
	s_mov_b32 s6, 0
.LBB6_2311:                             ; =>This Inner Loop Header: Depth=1
	s_sleep 1
	s_clause 0x1
	global_load_b64 v[10:11], v7, s[2:3] offset:40
	global_load_b64 v[14:15], v7, s[2:3]
	v_mov_b64_e32 v[12:13], v[2:3]
	s_wait_loadcnt 0x1
	s_delay_alu instid0(VALU_DEP_1) | instskip(NEXT) | instid1(VALU_DEP_2)
	v_and_b32_e32 v2, v10, v12
	v_and_b32_e32 v10, v11, v13
	s_wait_loadcnt 0x0
	s_delay_alu instid0(VALU_DEP_2) | instskip(NEXT) | instid1(VALU_DEP_1)
	v_mad_nc_u64_u32 v[2:3], v2, 24, v[14:15]
	v_mad_u32 v3, v10, 24, v3
	global_load_b64 v[10:11], v[2:3], off scope:SCOPE_SYS
	s_wait_xcnt 0x0
	s_wait_loadcnt 0x0
	global_atomic_cmpswap_b64 v[2:3], v7, v[10:13], s[2:3] offset:24 th:TH_ATOMIC_RETURN scope:SCOPE_SYS
	s_wait_loadcnt 0x0
	global_inv scope:SCOPE_SYS
	v_cmp_eq_u64_e32 vcc_lo, v[2:3], v[12:13]
	s_or_b32 s6, vcc_lo, s6
	s_wait_xcnt 0x0
	s_and_not1_b32 exec_lo, exec_lo, s6
	s_cbranch_execnz .LBB6_2311
; %bb.2312:
	s_or_b32 exec_lo, exec_lo, s6
.LBB6_2313:
	s_delay_alu instid0(SALU_CYCLE_1)
	s_or_b32 exec_lo, exec_lo, s5
.LBB6_2314:
	s_delay_alu instid0(SALU_CYCLE_1)
	s_or_b32 exec_lo, exec_lo, s4
	v_readfirstlane_b32 s4, v2
	v_mov_b32_e32 v7, 0
	v_readfirstlane_b32 s5, v3
	s_mov_b32 s6, exec_lo
	s_wait_loadcnt 0x0
	s_clause 0x1
	global_load_b64 v[10:11], v7, s[2:3] offset:40
	global_load_b128 v[12:15], v7, s[2:3]
	s_wait_loadcnt 0x1
	v_and_b32_e32 v10, s4, v10
	v_and_b32_e32 v11, s5, v11
	s_delay_alu instid0(VALU_DEP_1) | instskip(SKIP_1) | instid1(VALU_DEP_1)
	v_mul_u64_e32 v[2:3], 24, v[10:11]
	s_wait_loadcnt 0x0
	v_add_nc_u64_e32 v[2:3], v[12:13], v[2:3]
	s_wait_xcnt 0x0
	s_and_saveexec_b32 s7, s1
	s_cbranch_execz .LBB6_2316
; %bb.2315:
	v_mov_b64_e32 v[18:19], 0x100000002
	v_dual_mov_b32 v16, s6 :: v_dual_mov_b32 v17, v7
	global_store_b128 v[2:3], v[16:19], off offset:8
.LBB6_2316:
	s_wait_xcnt 0x0
	s_or_b32 exec_lo, exec_lo, s7
	v_lshlrev_b64_e32 v[10:11], 12, v[10:11]
	s_mov_b32 s8, 0
	v_and_or_b32 v8, 0xffffff1f, v8, 32
	s_mov_b32 s10, s8
	s_mov_b32 s11, s8
	;; [unrolled: 1-line block ×3, first 2 shown]
	v_mov_b64_e32 v[18:19], s[10:11]
	v_add_nc_u64_e32 v[14:15], v[14:15], v[10:11]
	v_mov_b64_e32 v[16:17], s[8:9]
	v_dual_mov_b32 v10, v7 :: v_dual_mov_b32 v11, v7
	s_delay_alu instid0(VALU_DEP_3) | instskip(NEXT) | instid1(VALU_DEP_4)
	v_readfirstlane_b32 s6, v14
	v_readfirstlane_b32 s7, v15
	s_clause 0x3
	global_store_b128 v6, v[8:11], s[6:7]
	global_store_b128 v6, v[16:19], s[6:7] offset:16
	global_store_b128 v6, v[16:19], s[6:7] offset:32
	;; [unrolled: 1-line block ×3, first 2 shown]
	s_wait_xcnt 0x0
	s_and_saveexec_b32 s6, s1
	s_cbranch_execz .LBB6_2323
; %bb.2317:
	v_dual_mov_b32 v16, 0 :: v_dual_mov_b32 v19, s5
	s_mov_b32 s7, exec_lo
	s_clause 0x1
	global_load_b64 v[20:21], v16, s[2:3] offset:32 scope:SCOPE_SYS
	global_load_b64 v[8:9], v16, s[2:3] offset:40
	s_wait_loadcnt 0x0
	v_dual_mov_b32 v18, s4 :: v_dual_bitop2_b32 v9, s5, v9 bitop3:0x40
	v_and_b32_e32 v8, s4, v8
	s_delay_alu instid0(VALU_DEP_1) | instskip(NEXT) | instid1(VALU_DEP_1)
	v_mul_u64_e32 v[8:9], 24, v[8:9]
	v_add_nc_u64_e32 v[12:13], v[12:13], v[8:9]
	global_store_b64 v[12:13], v[20:21], off
	global_wb scope:SCOPE_SYS
	s_wait_storecnt 0x0
	s_wait_xcnt 0x0
	global_atomic_cmpswap_b64 v[10:11], v16, v[18:21], s[2:3] offset:32 th:TH_ATOMIC_RETURN scope:SCOPE_SYS
	s_wait_loadcnt 0x0
	v_cmpx_ne_u64_e64 v[10:11], v[20:21]
	s_cbranch_execz .LBB6_2319
.LBB6_2318:                             ; =>This Inner Loop Header: Depth=1
	v_dual_mov_b32 v8, s4 :: v_dual_mov_b32 v9, s5
	s_sleep 1
	global_store_b64 v[12:13], v[10:11], off
	global_wb scope:SCOPE_SYS
	s_wait_storecnt 0x0
	s_wait_xcnt 0x0
	global_atomic_cmpswap_b64 v[8:9], v16, v[8:11], s[2:3] offset:32 th:TH_ATOMIC_RETURN scope:SCOPE_SYS
	s_wait_loadcnt 0x0
	v_cmp_eq_u64_e32 vcc_lo, v[8:9], v[10:11]
	v_mov_b64_e32 v[10:11], v[8:9]
	s_or_b32 s8, vcc_lo, s8
	s_delay_alu instid0(SALU_CYCLE_1)
	s_and_not1_b32 exec_lo, exec_lo, s8
	s_cbranch_execnz .LBB6_2318
.LBB6_2319:
	s_or_b32 exec_lo, exec_lo, s7
	v_mov_b32_e32 v11, 0
	s_mov_b32 s8, exec_lo
	s_mov_b32 s7, exec_lo
	v_mbcnt_lo_u32_b32 v10, s8, 0
	global_load_b64 v[8:9], v11, s[2:3] offset:16
	s_wait_xcnt 0x0
	v_cmpx_eq_u32_e32 0, v10
	s_cbranch_execz .LBB6_2321
; %bb.2320:
	s_bcnt1_i32_b32 s8, s8
	s_delay_alu instid0(SALU_CYCLE_1)
	v_mov_b32_e32 v10, s8
	global_wb scope:SCOPE_SYS
	s_wait_loadcnt 0x0
	s_wait_storecnt 0x0
	global_atomic_add_u64 v[8:9], v[10:11], off offset:8 scope:SCOPE_SYS
.LBB6_2321:
	s_wait_xcnt 0x0
	s_or_b32 exec_lo, exec_lo, s7
	s_wait_loadcnt 0x0
	global_load_b64 v[10:11], v[8:9], off offset:16
	s_wait_loadcnt 0x0
	v_cmp_eq_u64_e32 vcc_lo, 0, v[10:11]
	s_cbranch_vccnz .LBB6_2323
; %bb.2322:
	global_load_b32 v8, v[8:9], off offset:24
	s_wait_xcnt 0x0
	v_mov_b32_e32 v9, 0
	s_wait_loadcnt 0x0
	v_readfirstlane_b32 s7, v8
	global_wb scope:SCOPE_SYS
	s_wait_storecnt 0x0
	global_store_b64 v[10:11], v[8:9], off scope:SCOPE_SYS
	s_and_b32 m0, s7, 0xffffff
	s_sendmsg sendmsg(MSG_INTERRUPT)
.LBB6_2323:
	s_wait_xcnt 0x0
	s_or_b32 exec_lo, exec_lo, s6
	v_add_nc_u64_e32 v[8:9], v[14:15], v[6:7]
	s_branch .LBB6_2327
.LBB6_2324:                             ;   in Loop: Header=BB6_2327 Depth=1
	s_wait_xcnt 0x0
	s_or_b32 exec_lo, exec_lo, s6
	s_delay_alu instid0(VALU_DEP_1)
	v_readfirstlane_b32 s6, v7
	s_cmp_eq_u32 s6, 0
	s_cbranch_scc1 .LBB6_2326
; %bb.2325:                             ;   in Loop: Header=BB6_2327 Depth=1
	s_sleep 1
	s_cbranch_execnz .LBB6_2327
	s_branch .LBB6_2329
.LBB6_2326:
	s_branch .LBB6_2329
.LBB6_2327:                             ; =>This Inner Loop Header: Depth=1
	v_mov_b32_e32 v7, 1
	s_and_saveexec_b32 s6, s1
	s_cbranch_execz .LBB6_2324
; %bb.2328:                             ;   in Loop: Header=BB6_2327 Depth=1
	global_load_b32 v7, v[2:3], off offset:20 scope:SCOPE_SYS
	s_wait_loadcnt 0x0
	global_inv scope:SCOPE_SYS
	v_and_b32_e32 v7, 1, v7
	s_branch .LBB6_2324
.LBB6_2329:
	global_load_b64 v[10:11], v[8:9], off
	s_wait_xcnt 0x0
	s_and_saveexec_b32 s6, s1
	s_cbranch_execz .LBB6_2333
; %bb.2330:
	v_mov_b32_e32 v7, 0
	s_clause 0x2
	global_load_b64 v[2:3], v7, s[2:3] offset:40
	global_load_b64 v[16:17], v7, s[2:3] offset:24 scope:SCOPE_SYS
	global_load_b64 v[8:9], v7, s[2:3]
	s_wait_loadcnt 0x2
	v_readfirstlane_b32 s8, v2
	v_readfirstlane_b32 s9, v3
	s_add_nc_u64 s[10:11], s[8:9], 1
	s_delay_alu instid0(SALU_CYCLE_1) | instskip(NEXT) | instid1(SALU_CYCLE_1)
	s_add_nc_u64 s[4:5], s[10:11], s[4:5]
	s_cmp_eq_u64 s[4:5], 0
	s_cselect_b32 s5, s11, s5
	s_cselect_b32 s4, s10, s4
	v_mov_b32_e32 v15, s5
	s_and_b64 s[8:9], s[4:5], s[8:9]
	v_mov_b32_e32 v14, s4
	s_mul_u64 s[8:9], s[8:9], 24
	s_wait_loadcnt 0x0
	v_add_nc_u64_e32 v[2:3], s[8:9], v[8:9]
	global_store_b64 v[2:3], v[16:17], off
	global_wb scope:SCOPE_SYS
	s_wait_storecnt 0x0
	s_wait_xcnt 0x0
	global_atomic_cmpswap_b64 v[14:15], v7, v[14:17], s[2:3] offset:24 th:TH_ATOMIC_RETURN scope:SCOPE_SYS
	s_wait_loadcnt 0x0
	v_cmp_ne_u64_e32 vcc_lo, v[14:15], v[16:17]
	s_and_b32 exec_lo, exec_lo, vcc_lo
	s_cbranch_execz .LBB6_2333
; %bb.2331:
	s_mov_b32 s1, 0
.LBB6_2332:                             ; =>This Inner Loop Header: Depth=1
	v_dual_mov_b32 v12, s4 :: v_dual_mov_b32 v13, s5
	s_sleep 1
	global_store_b64 v[2:3], v[14:15], off
	global_wb scope:SCOPE_SYS
	s_wait_storecnt 0x0
	s_wait_xcnt 0x0
	global_atomic_cmpswap_b64 v[8:9], v7, v[12:15], s[2:3] offset:24 th:TH_ATOMIC_RETURN scope:SCOPE_SYS
	s_wait_loadcnt 0x0
	v_cmp_eq_u64_e32 vcc_lo, v[8:9], v[14:15]
	v_mov_b64_e32 v[14:15], v[8:9]
	s_or_b32 s1, vcc_lo, s1
	s_delay_alu instid0(SALU_CYCLE_1)
	s_and_not1_b32 exec_lo, exec_lo, s1
	s_cbranch_execnz .LBB6_2332
.LBB6_2333:
	s_or_b32 exec_lo, exec_lo, s6
.LBB6_2334:
	v_readfirstlane_b32 s1, v45
	v_mov_b64_e32 v[2:3], 0
	s_delay_alu instid0(VALU_DEP_2)
	v_cmp_eq_u32_e64 s1, s1, v45
	s_and_saveexec_b32 s4, s1
	s_cbranch_execz .LBB6_2340
; %bb.2335:
	v_mov_b32_e32 v7, 0
	s_mov_b32 s5, exec_lo
	global_load_b64 v[14:15], v7, s[2:3] offset:24 scope:SCOPE_SYS
	s_wait_loadcnt 0x0
	global_inv scope:SCOPE_SYS
	s_clause 0x1
	global_load_b64 v[2:3], v7, s[2:3] offset:40
	global_load_b64 v[8:9], v7, s[2:3]
	s_wait_loadcnt 0x1
	v_and_b32_e32 v2, v2, v14
	v_and_b32_e32 v3, v3, v15
	s_delay_alu instid0(VALU_DEP_1) | instskip(SKIP_1) | instid1(VALU_DEP_1)
	v_mul_u64_e32 v[2:3], 24, v[2:3]
	s_wait_loadcnt 0x0
	v_add_nc_u64_e32 v[2:3], v[8:9], v[2:3]
	global_load_b64 v[12:13], v[2:3], off scope:SCOPE_SYS
	s_wait_xcnt 0x0
	s_wait_loadcnt 0x0
	global_atomic_cmpswap_b64 v[2:3], v7, v[12:15], s[2:3] offset:24 th:TH_ATOMIC_RETURN scope:SCOPE_SYS
	s_wait_loadcnt 0x0
	global_inv scope:SCOPE_SYS
	s_wait_xcnt 0x0
	v_cmpx_ne_u64_e64 v[2:3], v[14:15]
	s_cbranch_execz .LBB6_2339
; %bb.2336:
	s_mov_b32 s6, 0
.LBB6_2337:                             ; =>This Inner Loop Header: Depth=1
	s_sleep 1
	s_clause 0x1
	global_load_b64 v[8:9], v7, s[2:3] offset:40
	global_load_b64 v[12:13], v7, s[2:3]
	v_mov_b64_e32 v[14:15], v[2:3]
	s_wait_loadcnt 0x1
	s_delay_alu instid0(VALU_DEP_1) | instskip(NEXT) | instid1(VALU_DEP_2)
	v_and_b32_e32 v2, v8, v14
	v_and_b32_e32 v8, v9, v15
	s_wait_loadcnt 0x0
	s_delay_alu instid0(VALU_DEP_2) | instskip(NEXT) | instid1(VALU_DEP_1)
	v_mad_nc_u64_u32 v[2:3], v2, 24, v[12:13]
	v_mad_u32 v3, v8, 24, v3
	global_load_b64 v[12:13], v[2:3], off scope:SCOPE_SYS
	s_wait_xcnt 0x0
	s_wait_loadcnt 0x0
	global_atomic_cmpswap_b64 v[2:3], v7, v[12:15], s[2:3] offset:24 th:TH_ATOMIC_RETURN scope:SCOPE_SYS
	s_wait_loadcnt 0x0
	global_inv scope:SCOPE_SYS
	v_cmp_eq_u64_e32 vcc_lo, v[2:3], v[14:15]
	s_or_b32 s6, vcc_lo, s6
	s_wait_xcnt 0x0
	s_and_not1_b32 exec_lo, exec_lo, s6
	s_cbranch_execnz .LBB6_2337
; %bb.2338:
	s_or_b32 exec_lo, exec_lo, s6
.LBB6_2339:
	s_delay_alu instid0(SALU_CYCLE_1)
	s_or_b32 exec_lo, exec_lo, s5
.LBB6_2340:
	s_delay_alu instid0(SALU_CYCLE_1)
	s_or_b32 exec_lo, exec_lo, s4
	v_readfirstlane_b32 s4, v2
	v_mov_b32_e32 v7, 0
	v_readfirstlane_b32 s5, v3
	s_mov_b32 s6, exec_lo
	s_wait_loadcnt 0x0
	s_clause 0x1
	global_load_b64 v[8:9], v7, s[2:3] offset:40
	global_load_b128 v[14:17], v7, s[2:3]
	s_wait_loadcnt 0x1
	v_and_b32_e32 v8, s4, v8
	v_and_b32_e32 v9, s5, v9
	s_delay_alu instid0(VALU_DEP_1) | instskip(SKIP_1) | instid1(VALU_DEP_1)
	v_mul_u64_e32 v[2:3], 24, v[8:9]
	s_wait_loadcnt 0x0
	v_add_nc_u64_e32 v[2:3], v[14:15], v[2:3]
	s_wait_xcnt 0x0
	s_and_saveexec_b32 s7, s1
	s_cbranch_execz .LBB6_2342
; %bb.2341:
	v_mov_b64_e32 v[20:21], 0x100000002
	v_dual_mov_b32 v18, s6 :: v_dual_mov_b32 v19, v7
	global_store_b128 v[2:3], v[18:21], off offset:8
.LBB6_2342:
	s_wait_xcnt 0x0
	s_or_b32 exec_lo, exec_lo, s7
	v_lshlrev_b64_e32 v[8:9], 12, v[8:9]
	s_mov_b32 s8, 0
	v_and_or_b32 v10, 0xffffff1f, v10, 32
	s_mov_b32 s10, s8
	s_mov_b32 s11, s8
	;; [unrolled: 1-line block ×3, first 2 shown]
	v_mov_b64_e32 v[20:21], s[10:11]
	v_add_nc_u64_e32 v[16:17], v[16:17], v[8:9]
	v_mov_b64_e32 v[18:19], s[8:9]
	v_dual_mov_b32 v12, v5 :: v_dual_mov_b32 v13, v7
	s_delay_alu instid0(VALU_DEP_3) | instskip(NEXT) | instid1(VALU_DEP_4)
	v_readfirstlane_b32 s6, v16
	v_readfirstlane_b32 s7, v17
	s_clause 0x3
	global_store_b128 v6, v[10:13], s[6:7]
	global_store_b128 v6, v[18:21], s[6:7] offset:16
	global_store_b128 v6, v[18:21], s[6:7] offset:32
	;; [unrolled: 1-line block ×3, first 2 shown]
	s_wait_xcnt 0x0
	s_and_saveexec_b32 s6, s1
	s_cbranch_execz .LBB6_2349
; %bb.2343:
	v_dual_mov_b32 v5, 0 :: v_dual_mov_b32 v19, s5
	s_mov_b32 s7, exec_lo
	s_clause 0x1
	global_load_b64 v[20:21], v5, s[2:3] offset:32 scope:SCOPE_SYS
	global_load_b64 v[8:9], v5, s[2:3] offset:40
	s_wait_loadcnt 0x0
	v_dual_mov_b32 v18, s4 :: v_dual_bitop2_b32 v9, s5, v9 bitop3:0x40
	v_and_b32_e32 v8, s4, v8
	s_delay_alu instid0(VALU_DEP_1) | instskip(NEXT) | instid1(VALU_DEP_1)
	v_mul_u64_e32 v[8:9], 24, v[8:9]
	v_add_nc_u64_e32 v[12:13], v[14:15], v[8:9]
	global_store_b64 v[12:13], v[20:21], off
	global_wb scope:SCOPE_SYS
	s_wait_storecnt 0x0
	s_wait_xcnt 0x0
	global_atomic_cmpswap_b64 v[10:11], v5, v[18:21], s[2:3] offset:32 th:TH_ATOMIC_RETURN scope:SCOPE_SYS
	s_wait_loadcnt 0x0
	v_cmpx_ne_u64_e64 v[10:11], v[20:21]
	s_cbranch_execz .LBB6_2345
.LBB6_2344:                             ; =>This Inner Loop Header: Depth=1
	v_dual_mov_b32 v8, s4 :: v_dual_mov_b32 v9, s5
	s_sleep 1
	global_store_b64 v[12:13], v[10:11], off
	global_wb scope:SCOPE_SYS
	s_wait_storecnt 0x0
	s_wait_xcnt 0x0
	global_atomic_cmpswap_b64 v[8:9], v5, v[8:11], s[2:3] offset:32 th:TH_ATOMIC_RETURN scope:SCOPE_SYS
	s_wait_loadcnt 0x0
	v_cmp_eq_u64_e32 vcc_lo, v[8:9], v[10:11]
	v_mov_b64_e32 v[10:11], v[8:9]
	s_or_b32 s8, vcc_lo, s8
	s_delay_alu instid0(SALU_CYCLE_1)
	s_and_not1_b32 exec_lo, exec_lo, s8
	s_cbranch_execnz .LBB6_2344
.LBB6_2345:
	s_or_b32 exec_lo, exec_lo, s7
	v_mov_b32_e32 v11, 0
	s_mov_b32 s8, exec_lo
	s_mov_b32 s7, exec_lo
	v_mbcnt_lo_u32_b32 v5, s8, 0
	global_load_b64 v[8:9], v11, s[2:3] offset:16
	s_wait_xcnt 0x0
	v_cmpx_eq_u32_e32 0, v5
	s_cbranch_execz .LBB6_2347
; %bb.2346:
	s_bcnt1_i32_b32 s8, s8
	s_delay_alu instid0(SALU_CYCLE_1)
	v_mov_b32_e32 v10, s8
	global_wb scope:SCOPE_SYS
	s_wait_loadcnt 0x0
	s_wait_storecnt 0x0
	global_atomic_add_u64 v[8:9], v[10:11], off offset:8 scope:SCOPE_SYS
.LBB6_2347:
	s_wait_xcnt 0x0
	s_or_b32 exec_lo, exec_lo, s7
	s_wait_loadcnt 0x0
	global_load_b64 v[10:11], v[8:9], off offset:16
	s_wait_loadcnt 0x0
	v_cmp_eq_u64_e32 vcc_lo, 0, v[10:11]
	s_cbranch_vccnz .LBB6_2349
; %bb.2348:
	global_load_b32 v8, v[8:9], off offset:24
	s_wait_xcnt 0x0
	v_mov_b32_e32 v9, 0
	s_wait_loadcnt 0x0
	v_readfirstlane_b32 s7, v8
	global_wb scope:SCOPE_SYS
	s_wait_storecnt 0x0
	global_store_b64 v[10:11], v[8:9], off scope:SCOPE_SYS
	s_and_b32 m0, s7, 0xffffff
	s_sendmsg sendmsg(MSG_INTERRUPT)
.LBB6_2349:
	s_wait_xcnt 0x0
	s_or_b32 exec_lo, exec_lo, s6
	v_add_nc_u64_e32 v[8:9], v[16:17], v[6:7]
	s_branch .LBB6_2353
.LBB6_2350:                             ;   in Loop: Header=BB6_2353 Depth=1
	s_wait_xcnt 0x0
	s_or_b32 exec_lo, exec_lo, s6
	s_delay_alu instid0(VALU_DEP_1)
	v_readfirstlane_b32 s6, v5
	s_cmp_eq_u32 s6, 0
	s_cbranch_scc1 .LBB6_2352
; %bb.2351:                             ;   in Loop: Header=BB6_2353 Depth=1
	s_sleep 1
	s_cbranch_execnz .LBB6_2353
	s_branch .LBB6_2355
.LBB6_2352:
	s_branch .LBB6_2355
.LBB6_2353:                             ; =>This Inner Loop Header: Depth=1
	v_mov_b32_e32 v5, 1
	s_and_saveexec_b32 s6, s1
	s_cbranch_execz .LBB6_2350
; %bb.2354:                             ;   in Loop: Header=BB6_2353 Depth=1
	global_load_b32 v5, v[2:3], off offset:20 scope:SCOPE_SYS
	s_wait_loadcnt 0x0
	global_inv scope:SCOPE_SYS
	v_and_b32_e32 v5, 1, v5
	s_branch .LBB6_2350
.LBB6_2355:
	global_load_b64 v[2:3], v[8:9], off
	s_wait_xcnt 0x0
	s_and_saveexec_b32 s6, s1
	s_cbranch_execz .LBB6_2359
; %bb.2356:
	v_mov_b32_e32 v5, 0
	s_clause 0x2
	global_load_b64 v[8:9], v5, s[2:3] offset:40
	global_load_b64 v[16:17], v5, s[2:3] offset:24 scope:SCOPE_SYS
	global_load_b64 v[10:11], v5, s[2:3]
	s_wait_loadcnt 0x2
	v_readfirstlane_b32 s8, v8
	v_readfirstlane_b32 s9, v9
	s_add_nc_u64 s[10:11], s[8:9], 1
	s_delay_alu instid0(SALU_CYCLE_1) | instskip(NEXT) | instid1(SALU_CYCLE_1)
	s_add_nc_u64 s[4:5], s[10:11], s[4:5]
	s_cmp_eq_u64 s[4:5], 0
	s_cselect_b32 s5, s11, s5
	s_cselect_b32 s4, s10, s4
	v_mov_b32_e32 v15, s5
	s_and_b64 s[8:9], s[4:5], s[8:9]
	v_mov_b32_e32 v14, s4
	s_mul_u64 s[8:9], s[8:9], 24
	s_wait_loadcnt 0x0
	v_add_nc_u64_e32 v[12:13], s[8:9], v[10:11]
	global_store_b64 v[12:13], v[16:17], off
	global_wb scope:SCOPE_SYS
	s_wait_storecnt 0x0
	s_wait_xcnt 0x0
	global_atomic_cmpswap_b64 v[10:11], v5, v[14:17], s[2:3] offset:24 th:TH_ATOMIC_RETURN scope:SCOPE_SYS
	s_wait_loadcnt 0x0
	v_cmp_ne_u64_e32 vcc_lo, v[10:11], v[16:17]
	s_and_b32 exec_lo, exec_lo, vcc_lo
	s_cbranch_execz .LBB6_2359
; %bb.2357:
	s_mov_b32 s1, 0
.LBB6_2358:                             ; =>This Inner Loop Header: Depth=1
	v_dual_mov_b32 v8, s4 :: v_dual_mov_b32 v9, s5
	s_sleep 1
	global_store_b64 v[12:13], v[10:11], off
	global_wb scope:SCOPE_SYS
	s_wait_storecnt 0x0
	s_wait_xcnt 0x0
	global_atomic_cmpswap_b64 v[8:9], v5, v[8:11], s[2:3] offset:24 th:TH_ATOMIC_RETURN scope:SCOPE_SYS
	s_wait_loadcnt 0x0
	v_cmp_eq_u64_e32 vcc_lo, v[8:9], v[10:11]
	v_mov_b64_e32 v[10:11], v[8:9]
	s_or_b32 s1, vcc_lo, s1
	s_delay_alu instid0(SALU_CYCLE_1)
	s_and_not1_b32 exec_lo, exec_lo, s1
	s_cbranch_execnz .LBB6_2358
.LBB6_2359:
	s_or_b32 exec_lo, exec_lo, s6
	v_readfirstlane_b32 s1, v45
	v_mov_b64_e32 v[12:13], 0
	s_delay_alu instid0(VALU_DEP_2)
	v_cmp_eq_u32_e64 s1, s1, v45
	s_and_saveexec_b32 s4, s1
	s_cbranch_execz .LBB6_2365
; %bb.2360:
	v_mov_b32_e32 v5, 0
	s_mov_b32 s5, exec_lo
	global_load_b64 v[10:11], v5, s[2:3] offset:24 scope:SCOPE_SYS
	s_wait_loadcnt 0x0
	global_inv scope:SCOPE_SYS
	s_clause 0x1
	global_load_b64 v[8:9], v5, s[2:3] offset:40
	global_load_b64 v[12:13], v5, s[2:3]
	s_wait_loadcnt 0x1
	v_and_b32_e32 v8, v8, v10
	v_and_b32_e32 v9, v9, v11
	s_delay_alu instid0(VALU_DEP_1) | instskip(SKIP_1) | instid1(VALU_DEP_1)
	v_mul_u64_e32 v[8:9], 24, v[8:9]
	s_wait_loadcnt 0x0
	v_add_nc_u64_e32 v[8:9], v[12:13], v[8:9]
	global_load_b64 v[8:9], v[8:9], off scope:SCOPE_SYS
	s_wait_xcnt 0x0
	s_wait_loadcnt 0x0
	global_atomic_cmpswap_b64 v[12:13], v5, v[8:11], s[2:3] offset:24 th:TH_ATOMIC_RETURN scope:SCOPE_SYS
	s_wait_loadcnt 0x0
	global_inv scope:SCOPE_SYS
	s_wait_xcnt 0x0
	v_cmpx_ne_u64_e64 v[12:13], v[10:11]
	s_cbranch_execz .LBB6_2364
; %bb.2361:
	s_mov_b32 s6, 0
.LBB6_2362:                             ; =>This Inner Loop Header: Depth=1
	s_sleep 1
	s_clause 0x1
	global_load_b64 v[8:9], v5, s[2:3] offset:40
	global_load_b64 v[14:15], v5, s[2:3]
	v_mov_b64_e32 v[10:11], v[12:13]
	s_wait_loadcnt 0x1
	s_delay_alu instid0(VALU_DEP_1) | instskip(SKIP_1) | instid1(VALU_DEP_1)
	v_and_b32_e32 v7, v8, v10
	s_wait_loadcnt 0x0
	v_mad_nc_u64_u32 v[12:13], v7, 24, v[14:15]
	s_delay_alu instid0(VALU_DEP_3) | instskip(NEXT) | instid1(VALU_DEP_1)
	v_and_b32_e32 v7, v9, v11
	v_mad_u32 v13, v7, 24, v13
	global_load_b64 v[8:9], v[12:13], off scope:SCOPE_SYS
	s_wait_xcnt 0x0
	s_wait_loadcnt 0x0
	global_atomic_cmpswap_b64 v[12:13], v5, v[8:11], s[2:3] offset:24 th:TH_ATOMIC_RETURN scope:SCOPE_SYS
	s_wait_loadcnt 0x0
	global_inv scope:SCOPE_SYS
	v_cmp_eq_u64_e32 vcc_lo, v[12:13], v[10:11]
	s_or_b32 s6, vcc_lo, s6
	s_wait_xcnt 0x0
	s_and_not1_b32 exec_lo, exec_lo, s6
	s_cbranch_execnz .LBB6_2362
; %bb.2363:
	s_or_b32 exec_lo, exec_lo, s6
.LBB6_2364:
	s_delay_alu instid0(SALU_CYCLE_1)
	s_or_b32 exec_lo, exec_lo, s5
.LBB6_2365:
	s_delay_alu instid0(SALU_CYCLE_1)
	s_or_b32 exec_lo, exec_lo, s4
	v_readfirstlane_b32 s4, v12
	v_mov_b32_e32 v5, 0
	v_readfirstlane_b32 s5, v13
	s_mov_b32 s6, exec_lo
	s_clause 0x1
	global_load_b64 v[14:15], v5, s[2:3] offset:40
	global_load_b128 v[8:11], v5, s[2:3]
	s_wait_loadcnt 0x1
	v_and_b32_e32 v14, s4, v14
	v_and_b32_e32 v15, s5, v15
	s_delay_alu instid0(VALU_DEP_1) | instskip(SKIP_1) | instid1(VALU_DEP_1)
	v_mul_u64_e32 v[12:13], 24, v[14:15]
	s_wait_loadcnt 0x0
	v_add_nc_u64_e32 v[12:13], v[8:9], v[12:13]
	s_wait_xcnt 0x0
	s_and_saveexec_b32 s7, s1
	s_cbranch_execz .LBB6_2367
; %bb.2366:
	v_mov_b64_e32 v[18:19], 0x100000002
	v_dual_mov_b32 v16, s6 :: v_dual_mov_b32 v17, v5
	global_store_b128 v[12:13], v[16:19], off offset:8
.LBB6_2367:
	s_wait_xcnt 0x0
	s_or_b32 exec_lo, exec_lo, s7
	v_lshlrev_b64_e32 v[14:15], 12, v[14:15]
	s_mov_b32 s8, 0
	v_and_or_b32 v2, 0xffffff1d, v2, 34
	s_mov_b32 s10, s8
	s_mov_b32 s11, s8
	;; [unrolled: 1-line block ×3, first 2 shown]
	s_delay_alu instid0(VALU_DEP_2) | instskip(SKIP_2) | instid1(VALU_DEP_3)
	v_add_nc_u64_e32 v[10:11], v[10:11], v[14:15]
	v_mov_b64_e32 v[16:17], s[10:11]
	v_mov_b64_e32 v[14:15], s[8:9]
	v_readfirstlane_b32 s6, v10
	s_delay_alu instid0(VALU_DEP_4)
	v_readfirstlane_b32 s7, v11
	s_clause 0x3
	global_store_b128 v6, v[2:5], s[6:7]
	global_store_b128 v6, v[14:17], s[6:7] offset:16
	global_store_b128 v6, v[14:17], s[6:7] offset:32
	;; [unrolled: 1-line block ×3, first 2 shown]
	s_wait_xcnt 0x0
	s_and_saveexec_b32 s6, s1
	s_cbranch_execz .LBB6_2374
; %bb.2368:
	v_dual_mov_b32 v10, 0 :: v_dual_mov_b32 v15, s5
	s_mov_b32 s7, exec_lo
	s_clause 0x1
	global_load_b64 v[16:17], v10, s[2:3] offset:32 scope:SCOPE_SYS
	global_load_b64 v[2:3], v10, s[2:3] offset:40
	s_wait_loadcnt 0x0
	v_dual_mov_b32 v14, s4 :: v_dual_bitop2_b32 v3, s5, v3 bitop3:0x40
	v_and_b32_e32 v2, s4, v2
	s_delay_alu instid0(VALU_DEP_1) | instskip(NEXT) | instid1(VALU_DEP_1)
	v_mul_u64_e32 v[2:3], 24, v[2:3]
	v_add_nc_u64_e32 v[6:7], v[8:9], v[2:3]
	global_store_b64 v[6:7], v[16:17], off
	global_wb scope:SCOPE_SYS
	s_wait_storecnt 0x0
	s_wait_xcnt 0x0
	global_atomic_cmpswap_b64 v[4:5], v10, v[14:17], s[2:3] offset:32 th:TH_ATOMIC_RETURN scope:SCOPE_SYS
	s_wait_loadcnt 0x0
	v_cmpx_ne_u64_e64 v[4:5], v[16:17]
	s_cbranch_execz .LBB6_2370
.LBB6_2369:                             ; =>This Inner Loop Header: Depth=1
	v_dual_mov_b32 v2, s4 :: v_dual_mov_b32 v3, s5
	s_sleep 1
	global_store_b64 v[6:7], v[4:5], off
	global_wb scope:SCOPE_SYS
	s_wait_storecnt 0x0
	s_wait_xcnt 0x0
	global_atomic_cmpswap_b64 v[2:3], v10, v[2:5], s[2:3] offset:32 th:TH_ATOMIC_RETURN scope:SCOPE_SYS
	s_wait_loadcnt 0x0
	v_cmp_eq_u64_e32 vcc_lo, v[2:3], v[4:5]
	v_mov_b64_e32 v[4:5], v[2:3]
	s_or_b32 s8, vcc_lo, s8
	s_delay_alu instid0(SALU_CYCLE_1)
	s_and_not1_b32 exec_lo, exec_lo, s8
	s_cbranch_execnz .LBB6_2369
.LBB6_2370:
	s_or_b32 exec_lo, exec_lo, s7
	v_mov_b32_e32 v5, 0
	s_mov_b32 s8, exec_lo
	s_mov_b32 s7, exec_lo
	v_mbcnt_lo_u32_b32 v4, s8, 0
	global_load_b64 v[2:3], v5, s[2:3] offset:16
	s_wait_xcnt 0x0
	v_cmpx_eq_u32_e32 0, v4
	s_cbranch_execz .LBB6_2372
; %bb.2371:
	s_bcnt1_i32_b32 s8, s8
	s_delay_alu instid0(SALU_CYCLE_1)
	v_mov_b32_e32 v4, s8
	global_wb scope:SCOPE_SYS
	s_wait_loadcnt 0x0
	s_wait_storecnt 0x0
	global_atomic_add_u64 v[2:3], v[4:5], off offset:8 scope:SCOPE_SYS
.LBB6_2372:
	s_wait_xcnt 0x0
	s_or_b32 exec_lo, exec_lo, s7
	s_wait_loadcnt 0x0
	global_load_b64 v[4:5], v[2:3], off offset:16
	s_wait_loadcnt 0x0
	v_cmp_eq_u64_e32 vcc_lo, 0, v[4:5]
	s_cbranch_vccnz .LBB6_2374
; %bb.2373:
	global_load_b32 v2, v[2:3], off offset:24
	s_wait_xcnt 0x0
	v_mov_b32_e32 v3, 0
	s_wait_loadcnt 0x0
	v_readfirstlane_b32 s7, v2
	global_wb scope:SCOPE_SYS
	s_wait_storecnt 0x0
	global_store_b64 v[4:5], v[2:3], off scope:SCOPE_SYS
	s_and_b32 m0, s7, 0xffffff
	s_sendmsg sendmsg(MSG_INTERRUPT)
.LBB6_2374:
	s_wait_xcnt 0x0
	s_or_b32 exec_lo, exec_lo, s6
	s_branch .LBB6_2378
.LBB6_2375:                             ;   in Loop: Header=BB6_2378 Depth=1
	s_wait_xcnt 0x0
	s_or_b32 exec_lo, exec_lo, s6
	s_delay_alu instid0(VALU_DEP_1)
	v_readfirstlane_b32 s6, v2
	s_cmp_eq_u32 s6, 0
	s_cbranch_scc1 .LBB6_2377
; %bb.2376:                             ;   in Loop: Header=BB6_2378 Depth=1
	s_sleep 1
	s_cbranch_execnz .LBB6_2378
	s_branch .LBB6_2380
.LBB6_2377:
	s_branch .LBB6_2380
.LBB6_2378:                             ; =>This Inner Loop Header: Depth=1
	v_mov_b32_e32 v2, 1
	s_and_saveexec_b32 s6, s1
	s_cbranch_execz .LBB6_2375
; %bb.2379:                             ;   in Loop: Header=BB6_2378 Depth=1
	global_load_b32 v2, v[12:13], off offset:20 scope:SCOPE_SYS
	s_wait_loadcnt 0x0
	global_inv scope:SCOPE_SYS
	v_and_b32_e32 v2, 1, v2
	s_branch .LBB6_2375
.LBB6_2380:
	s_and_b32 exec_lo, exec_lo, s1
	s_cbranch_execz .LBB6_2384
; %bb.2381:
	v_mov_b32_e32 v8, 0
	s_clause 0x2
	global_load_b64 v[2:3], v8, s[2:3] offset:40
	global_load_b64 v[12:13], v8, s[2:3] offset:24 scope:SCOPE_SYS
	global_load_b64 v[4:5], v8, s[2:3]
	s_wait_loadcnt 0x2
	v_readfirstlane_b32 s6, v2
	v_readfirstlane_b32 s7, v3
	s_add_nc_u64 s[8:9], s[6:7], 1
	s_delay_alu instid0(SALU_CYCLE_1) | instskip(NEXT) | instid1(SALU_CYCLE_1)
	s_add_nc_u64 s[4:5], s[8:9], s[4:5]
	s_cmp_eq_u64 s[4:5], 0
	s_cselect_b32 s5, s9, s5
	s_cselect_b32 s4, s8, s4
	v_mov_b32_e32 v11, s5
	s_and_b64 s[6:7], s[4:5], s[6:7]
	v_mov_b32_e32 v10, s4
	s_mul_u64 s[6:7], s[6:7], 24
	s_wait_loadcnt 0x0
	v_add_nc_u64_e32 v[6:7], s[6:7], v[4:5]
	global_store_b64 v[6:7], v[12:13], off
	global_wb scope:SCOPE_SYS
	s_wait_storecnt 0x0
	s_wait_xcnt 0x0
	global_atomic_cmpswap_b64 v[4:5], v8, v[10:13], s[2:3] offset:24 th:TH_ATOMIC_RETURN scope:SCOPE_SYS
	s_wait_loadcnt 0x0
	v_cmp_ne_u64_e32 vcc_lo, v[4:5], v[12:13]
	s_and_b32 exec_lo, exec_lo, vcc_lo
	s_cbranch_execz .LBB6_2384
; %bb.2382:
	s_mov_b32 s1, 0
.LBB6_2383:                             ; =>This Inner Loop Header: Depth=1
	v_dual_mov_b32 v2, s4 :: v_dual_mov_b32 v3, s5
	s_sleep 1
	global_store_b64 v[6:7], v[4:5], off
	global_wb scope:SCOPE_SYS
	s_wait_storecnt 0x0
	s_wait_xcnt 0x0
	global_atomic_cmpswap_b64 v[2:3], v8, v[2:5], s[2:3] offset:24 th:TH_ATOMIC_RETURN scope:SCOPE_SYS
	s_wait_loadcnt 0x0
	v_cmp_eq_u64_e32 vcc_lo, v[2:3], v[4:5]
	v_mov_b64_e32 v[4:5], v[2:3]
	s_or_b32 s1, vcc_lo, s1
	s_delay_alu instid0(SALU_CYCLE_1)
	s_and_not1_b32 exec_lo, exec_lo, s1
	s_cbranch_execnz .LBB6_2383
.LBB6_2384:
	s_or_b32 exec_lo, exec_lo, s16
	v_or_b32_e32 v0, v0, v44
	s_xor_b32 s0, s0, -1
	s_mov_b32 s19, 0
                                        ; implicit-def: $vgpr44
	s_delay_alu instid0(VALU_DEP_1) | instskip(SKIP_1) | instid1(SALU_CYCLE_1)
	v_cmp_lt_i32_e32 vcc_lo, -1, v0
	s_and_b32 s0, vcc_lo, s0
	s_and_saveexec_b32 s1, s0
	s_delay_alu instid0(SALU_CYCLE_1)
	s_xor_b32 s0, exec_lo, s1
	s_cbranch_execz .LBB6_2386
; %bb.2385:
	flat_load_b32 v2, v[42:43]
	v_lshl_or_b32 v0, v38, 1, 1
	s_mov_b32 s19, exec_lo
	s_wait_loadcnt_dscnt 0x0
	v_dual_ashrrev_i32 v3, 31, v2 :: v_dual_add_nc_u32 v6, 1, v2
	v_lshl_or_b32 v44, v2, 1, 1
	s_delay_alu instid0(VALU_DEP_2)
	v_lshl_add_u64 v[4:5], v[2:3], 3, v[42:43]
	s_clause 0x1
	flat_store_b32 v[42:43], v6
	flat_store_b64 v[4:5], v[0:1] offset:8
.LBB6_2386:
	s_wait_xcnt 0x0
	s_or_saveexec_b32 s20, s0
	s_mov_b32 s0, s17
	s_xor_b32 exec_lo, exec_lo, s20
	s_cbranch_execz .LBB6_2388
; %bb.2387:
	s_get_pc_i64 s[0:1]
	s_add_nc_u64 s[0:1], s[0:1], .str.46@rel64+4
	s_get_pc_i64 s[2:3]
	s_add_nc_u64 s[2:3], s[2:3], .str.44@rel64+4
	s_get_pc_i64 s[4:5]
	s_add_nc_u64 s[4:5], s[4:5], __PRETTY_FUNCTION__._ZN8subgUtil18formAndNodeKeyFlagEiii@rel64+4
	v_dual_mov_b32 v0, s0 :: v_dual_mov_b32 v1, s1
	v_dual_mov_b32 v2, s2 :: v_dual_mov_b32 v3, s3
	;; [unrolled: 1-line block ×3, first 2 shown]
	v_mov_b32_e32 v6, s5
	s_get_pc_i64 s[6:7]
	s_add_nc_u64 s[6:7], s[6:7], __assert_fail@rel64+4
	s_mov_b64 s[8:9], s[52:53]
	s_swap_pc_i64 s[30:31], s[6:7]
	s_or_b32 s0, s17, exec_lo
.LBB6_2388:
	s_or_b32 exec_lo, exec_lo, s20
	s_delay_alu instid0(SALU_CYCLE_1)
	s_and_not1_b32 s1, s17, exec_lo
	s_and_b32 s0, s0, exec_lo
	s_and_b32 s48, s19, exec_lo
	s_or_b32 s17, s1, s0
.LBB6_2389:
	s_or_b32 exec_lo, exec_lo, s18
	v_readlane_b32 s20, v73, 10
	v_readlane_b32 s21, v73, 9
	;; [unrolled: 1-line block ×11, first 2 shown]
	s_and_not1_b32 s0, s36, exec_lo
	s_and_b32 s1, s17, exec_lo
	s_delay_alu instid0(SALU_CYCLE_1)
	s_or_b32 s0, s0, s1
	s_or_not1_b32 s1, s48, exec_lo
.LBB6_2390:
	s_or_b32 exec_lo, exec_lo, s38
	s_mov_b32 s3, s24
	s_and_saveexec_b32 s2, s1
; %bb.2391:
	s_or_b32 s3, s24, exec_lo
; %bb.2392:
	s_or_b32 exec_lo, exec_lo, s2
	s_delay_alu instid0(SALU_CYCLE_1)
	s_and_not1_b32 s1, s36, exec_lo
	s_and_b32 s0, s0, exec_lo
	s_and_b32 s3, s3, exec_lo
	s_or_b32 s2, s1, s0
	s_and_not1_b32 s1, s24, exec_lo
	s_xor_b32 s0, exec_lo, -1
	s_or_b32 s1, s1, s3
.LBB6_2393:
	s_or_b32 exec_lo, exec_lo, s39
	s_delay_alu instid0(SALU_CYCLE_1)
	s_and_not1_b32 s3, s36, exec_lo
	s_and_b32 s2, s2, exec_lo
	s_and_b32 s1, s1, exec_lo
	s_or_b32 s36, s3, s2
	s_and_not1_b32 s2, s24, exec_lo
	s_and_b32 s0, s0, exec_lo
	s_or_b32 s1, s2, s1
.LBB6_2394:
	s_or_b32 exec_lo, exec_lo, s37
	s_delay_alu instid0(SALU_CYCLE_1)
	s_and_not1_b32 s2, s69, exec_lo
	s_and_b32 s3, s36, exec_lo
	s_and_b32 s1, s1, exec_lo
	s_or_b32 s69, s2, s3
	s_and_not1_b32 s2, s24, exec_lo
	s_and_b32 s0, s0, exec_lo
	s_or_b32 s1, s2, s1
.LBB6_2395:
	s_or_b32 exec_lo, exec_lo, s70
	s_delay_alu instid0(SALU_CYCLE_1)
	s_and_not1_b32 s2, s67, exec_lo
	s_and_b32 s3, s69, exec_lo
	s_and_b32 s1, s1, exec_lo
	s_or_b32 s67, s2, s3
	s_and_not1_b32 s2, s24, exec_lo
	s_and_b32 s0, s0, exec_lo
	s_or_b32 s2, s2, s1
.LBB6_2396:
	s_or_b32 exec_lo, exec_lo, s68
	s_delay_alu instid0(SALU_CYCLE_1)
	s_and_not1_b32 s1, s23, exec_lo
	s_and_b32 s3, s67, exec_lo
	s_and_not1_b32 s4, s24, exec_lo
	s_and_b32 s2, s2, exec_lo
	s_or_b32 s3, s1, s3
	s_xor_b32 s1, exec_lo, -1
	s_and_b32 s0, s0, exec_lo
	s_or_b32 s2, s4, s2
.LBB6_2397:
	s_or_b32 exec_lo, exec_lo, s49
	s_delay_alu instid0(SALU_CYCLE_1)
	s_and_not1_b32 s4, s23, exec_lo
	s_and_b32 s3, s3, exec_lo
	s_and_b32 s41, s1, exec_lo
	s_and_not1_b32 s1, s24, exec_lo
	s_and_b32 s2, s2, exec_lo
	s_or_b32 s23, s4, s3
	s_and_b32 s29, s0, exec_lo
	s_or_b32 s24, s1, s2
.LBB6_2398:
	s_or_b32 exec_lo, exec_lo, s40
	s_and_saveexec_b32 s0, s24
	s_delay_alu instid0(SALU_CYCLE_1) | instskip(SKIP_1) | instid1(SALU_CYCLE_1)
	s_or_b32 exec_lo, exec_lo, s0
	s_and_saveexec_b32 s0, s29
	s_xor_b32 s17, exec_lo, s0
	s_cbranch_execz .LBB6_2400
; %bb.2399:
	s_get_pc_i64 s[0:1]
	s_add_nc_u64 s[0:1], s[0:1], .str.46@rel64+4
	s_get_pc_i64 s[2:3]
	s_add_nc_u64 s[2:3], s[2:3], .str.44@rel64+4
	s_get_pc_i64 s[4:5]
	s_add_nc_u64 s[4:5], s[4:5], __PRETTY_FUNCTION__._ZN8subgUtil18formAndNodeKeyFlagEiii@rel64+4
	v_dual_mov_b32 v0, s0 :: v_dual_mov_b32 v1, s1
	v_dual_mov_b32 v2, s2 :: v_dual_mov_b32 v3, s3
	;; [unrolled: 1-line block ×3, first 2 shown]
	v_mov_b32_e32 v6, s5
	s_get_pc_i64 s[6:7]
	s_add_nc_u64 s[6:7], s[6:7], __assert_fail@rel64+4
	s_mov_b64 s[8:9], s[52:53]
	s_swap_pc_i64 s[30:31], s[6:7]
	s_or_b32 s23, s23, exec_lo
.LBB6_2400:
	s_or_b32 exec_lo, exec_lo, s17
	s_and_saveexec_b32 s17, s41
	s_cbranch_execz .LBB6_2536
; %bb.2401:
	s_load_b64 s[2:3], s[52:53], 0x50
	v_mbcnt_lo_u32_b32 v32, -1, 0
	v_mov_b64_e32 v[2:3], 0
	s_delay_alu instid0(VALU_DEP_2) | instskip(NEXT) | instid1(VALU_DEP_1)
	v_readfirstlane_b32 s0, v32
	v_cmp_eq_u32_e64 s0, s0, v32
	s_and_saveexec_b32 s1, s0
	s_cbranch_execz .LBB6_2407
; %bb.2402:
	v_mov_b32_e32 v0, 0
	s_mov_b32 s4, exec_lo
	s_wait_kmcnt 0x0
	global_load_b64 v[4:5], v0, s[2:3] offset:24 scope:SCOPE_SYS
	s_wait_loadcnt 0x0
	global_inv scope:SCOPE_SYS
	s_clause 0x1
	global_load_b64 v[2:3], v0, s[2:3] offset:40
	global_load_b64 v[6:7], v0, s[2:3]
	s_wait_loadcnt 0x1
	v_and_b32_e32 v2, v2, v4
	v_and_b32_e32 v3, v3, v5
	s_delay_alu instid0(VALU_DEP_1) | instskip(SKIP_1) | instid1(VALU_DEP_1)
	v_mul_u64_e32 v[2:3], 24, v[2:3]
	s_wait_loadcnt 0x0
	v_add_nc_u64_e32 v[2:3], v[6:7], v[2:3]
	global_load_b64 v[2:3], v[2:3], off scope:SCOPE_SYS
	s_wait_xcnt 0x0
	s_wait_loadcnt 0x0
	global_atomic_cmpswap_b64 v[2:3], v0, v[2:5], s[2:3] offset:24 th:TH_ATOMIC_RETURN scope:SCOPE_SYS
	s_wait_loadcnt 0x0
	global_inv scope:SCOPE_SYS
	s_wait_xcnt 0x0
	v_cmpx_ne_u64_e64 v[2:3], v[4:5]
	s_cbranch_execz .LBB6_2406
; %bb.2403:
	s_mov_b32 s5, 0
.LBB6_2404:                             ; =>This Inner Loop Header: Depth=1
	s_sleep 1
	s_clause 0x1
	global_load_b64 v[6:7], v0, s[2:3] offset:40
	global_load_b64 v[8:9], v0, s[2:3]
	v_mov_b64_e32 v[4:5], v[2:3]
	s_wait_loadcnt 0x1
	s_delay_alu instid0(VALU_DEP_1) | instskip(SKIP_1) | instid1(VALU_DEP_1)
	v_and_b32_e32 v1, v6, v4
	s_wait_loadcnt 0x0
	v_mad_nc_u64_u32 v[2:3], v1, 24, v[8:9]
	s_delay_alu instid0(VALU_DEP_3) | instskip(NEXT) | instid1(VALU_DEP_1)
	v_and_b32_e32 v1, v7, v5
	v_mad_u32 v3, v1, 24, v3
	global_load_b64 v[2:3], v[2:3], off scope:SCOPE_SYS
	s_wait_xcnt 0x0
	s_wait_loadcnt 0x0
	global_atomic_cmpswap_b64 v[2:3], v0, v[2:5], s[2:3] offset:24 th:TH_ATOMIC_RETURN scope:SCOPE_SYS
	s_wait_loadcnt 0x0
	global_inv scope:SCOPE_SYS
	v_cmp_eq_u64_e32 vcc_lo, v[2:3], v[4:5]
	s_or_b32 s5, vcc_lo, s5
	s_wait_xcnt 0x0
	s_and_not1_b32 exec_lo, exec_lo, s5
	s_cbranch_execnz .LBB6_2404
; %bb.2405:
	s_or_b32 exec_lo, exec_lo, s5
.LBB6_2406:
	s_delay_alu instid0(SALU_CYCLE_1)
	s_or_b32 exec_lo, exec_lo, s4
.LBB6_2407:
	s_delay_alu instid0(SALU_CYCLE_1)
	s_or_b32 exec_lo, exec_lo, s1
	v_readfirstlane_b32 s4, v2
	v_mov_b32_e32 v1, 0
	v_readfirstlane_b32 s5, v3
	s_mov_b32 s1, exec_lo
	s_wait_kmcnt 0x0
	s_clause 0x1
	global_load_b64 v[8:9], v1, s[2:3] offset:40
	global_load_b128 v[4:7], v1, s[2:3]
	s_wait_loadcnt 0x1
	v_and_b32_e32 v10, s4, v8
	v_and_b32_e32 v11, s5, v9
	s_delay_alu instid0(VALU_DEP_1) | instskip(SKIP_1) | instid1(VALU_DEP_1)
	v_mul_u64_e32 v[2:3], 24, v[10:11]
	s_wait_loadcnt 0x0
	v_add_nc_u64_e32 v[8:9], v[4:5], v[2:3]
	s_wait_xcnt 0x0
	s_and_saveexec_b32 s6, s0
	s_cbranch_execz .LBB6_2409
; %bb.2408:
	v_mov_b64_e32 v[2:3], 0x100000002
	v_mov_b32_e32 v0, s1
	global_store_b128 v[8:9], v[0:3], off offset:8
.LBB6_2409:
	s_wait_xcnt 0x0
	s_or_b32 exec_lo, exec_lo, s6
	v_lshlrev_b64_e32 v[2:3], 12, v[10:11]
	s_mov_b32 s8, 0
	v_dual_lshlrev_b32 v0, 6, v32 :: v_dual_mov_b32 v10, 33
	s_mov_b32 s10, s8
	s_mov_b32 s11, s8
	;; [unrolled: 1-line block ×3, first 2 shown]
	s_delay_alu instid0(VALU_DEP_2)
	v_add_nc_u64_e32 v[6:7], v[6:7], v[2:3]
	v_mov_b64_e32 v[16:17], s[10:11]
	v_mov_b64_e32 v[14:15], s[8:9]
	s_wait_dscnt 0x1
	v_dual_mov_b32 v11, v1 :: v_dual_mov_b32 v12, v1
	v_mov_b32_e32 v13, v1
	v_readfirstlane_b32 s6, v6
	v_readfirstlane_b32 s7, v7
	s_clause 0x3
	global_store_b128 v0, v[10:13], s[6:7]
	global_store_b128 v0, v[14:17], s[6:7] offset:16
	global_store_b128 v0, v[14:17], s[6:7] offset:32
	;; [unrolled: 1-line block ×3, first 2 shown]
	s_wait_xcnt 0x0
	s_and_saveexec_b32 s1, s0
	s_cbranch_execz .LBB6_2417
; %bb.2410:
	v_dual_mov_b32 v12, 0 :: v_dual_mov_b32 v15, s5
	s_mov_b32 s6, exec_lo
	s_clause 0x1
	global_load_b64 v[16:17], v12, s[2:3] offset:32 scope:SCOPE_SYS
	global_load_b64 v[2:3], v12, s[2:3] offset:40
	s_wait_loadcnt 0x0
	v_dual_mov_b32 v14, s4 :: v_dual_bitop2_b32 v3, s5, v3 bitop3:0x40
	v_and_b32_e32 v2, s4, v2
	s_delay_alu instid0(VALU_DEP_1) | instskip(NEXT) | instid1(VALU_DEP_1)
	v_mul_u64_e32 v[2:3], 24, v[2:3]
	v_add_nc_u64_e32 v[10:11], v[4:5], v[2:3]
	global_store_b64 v[10:11], v[16:17], off
	global_wb scope:SCOPE_SYS
	s_wait_storecnt 0x0
	s_wait_xcnt 0x0
	global_atomic_cmpswap_b64 v[4:5], v12, v[14:17], s[2:3] offset:32 th:TH_ATOMIC_RETURN scope:SCOPE_SYS
	s_wait_loadcnt 0x0
	v_cmpx_ne_u64_e64 v[4:5], v[16:17]
	s_cbranch_execz .LBB6_2413
; %bb.2411:
	s_mov_b32 s7, 0
.LBB6_2412:                             ; =>This Inner Loop Header: Depth=1
	v_dual_mov_b32 v2, s4 :: v_dual_mov_b32 v3, s5
	s_sleep 1
	global_store_b64 v[10:11], v[4:5], off
	global_wb scope:SCOPE_SYS
	s_wait_storecnt 0x0
	s_wait_xcnt 0x0
	global_atomic_cmpswap_b64 v[2:3], v12, v[2:5], s[2:3] offset:32 th:TH_ATOMIC_RETURN scope:SCOPE_SYS
	s_wait_loadcnt 0x0
	v_cmp_eq_u64_e32 vcc_lo, v[2:3], v[4:5]
	v_mov_b64_e32 v[4:5], v[2:3]
	s_or_b32 s7, vcc_lo, s7
	s_delay_alu instid0(SALU_CYCLE_1)
	s_and_not1_b32 exec_lo, exec_lo, s7
	s_cbranch_execnz .LBB6_2412
.LBB6_2413:
	s_or_b32 exec_lo, exec_lo, s6
	v_mov_b32_e32 v5, 0
	s_mov_b32 s7, exec_lo
	s_mov_b32 s6, exec_lo
	v_mbcnt_lo_u32_b32 v4, s7, 0
	global_load_b64 v[2:3], v5, s[2:3] offset:16
	s_wait_xcnt 0x0
	v_cmpx_eq_u32_e32 0, v4
	s_cbranch_execz .LBB6_2415
; %bb.2414:
	s_bcnt1_i32_b32 s7, s7
	s_delay_alu instid0(SALU_CYCLE_1)
	v_mov_b32_e32 v4, s7
	global_wb scope:SCOPE_SYS
	s_wait_loadcnt 0x0
	s_wait_storecnt 0x0
	global_atomic_add_u64 v[2:3], v[4:5], off offset:8 scope:SCOPE_SYS
.LBB6_2415:
	s_wait_xcnt 0x0
	s_or_b32 exec_lo, exec_lo, s6
	s_wait_loadcnt 0x0
	global_load_b64 v[4:5], v[2:3], off offset:16
	s_wait_loadcnt 0x0
	v_cmp_eq_u64_e32 vcc_lo, 0, v[4:5]
	s_cbranch_vccnz .LBB6_2417
; %bb.2416:
	global_load_b32 v2, v[2:3], off offset:24
	s_wait_xcnt 0x0
	v_mov_b32_e32 v3, 0
	s_wait_loadcnt 0x0
	v_readfirstlane_b32 s6, v2
	global_wb scope:SCOPE_SYS
	s_wait_storecnt 0x0
	global_store_b64 v[4:5], v[2:3], off scope:SCOPE_SYS
	s_and_b32 m0, s6, 0xffffff
	s_sendmsg sendmsg(MSG_INTERRUPT)
.LBB6_2417:
	s_wait_xcnt 0x0
	s_or_b32 exec_lo, exec_lo, s1
	v_add_nc_u64_e32 v[2:3], v[6:7], v[0:1]
	s_branch .LBB6_2421
.LBB6_2418:                             ;   in Loop: Header=BB6_2421 Depth=1
	s_wait_xcnt 0x0
	s_or_b32 exec_lo, exec_lo, s1
	s_delay_alu instid0(VALU_DEP_1)
	v_readfirstlane_b32 s1, v1
	s_cmp_eq_u32 s1, 0
	s_cbranch_scc1 .LBB6_2420
; %bb.2419:                             ;   in Loop: Header=BB6_2421 Depth=1
	s_sleep 1
	s_cbranch_execnz .LBB6_2421
	s_branch .LBB6_2423
.LBB6_2420:
	s_branch .LBB6_2423
.LBB6_2421:                             ; =>This Inner Loop Header: Depth=1
	v_mov_b32_e32 v1, 1
	s_and_saveexec_b32 s1, s0
	s_cbranch_execz .LBB6_2418
; %bb.2422:                             ;   in Loop: Header=BB6_2421 Depth=1
	global_load_b32 v1, v[8:9], off offset:20 scope:SCOPE_SYS
	s_wait_loadcnt 0x0
	global_inv scope:SCOPE_SYS
	v_and_b32_e32 v1, 1, v1
	s_branch .LBB6_2418
.LBB6_2423:
	global_load_b64 v[2:3], v[2:3], off
	s_wait_xcnt 0x0
	s_and_saveexec_b32 s6, s0
	s_cbranch_execz .LBB6_2427
; %bb.2424:
	v_mov_b32_e32 v1, 0
	s_clause 0x2
	global_load_b64 v[4:5], v1, s[2:3] offset:40
	global_load_b64 v[12:13], v1, s[2:3] offset:24 scope:SCOPE_SYS
	global_load_b64 v[6:7], v1, s[2:3]
	s_wait_loadcnt 0x2
	v_readfirstlane_b32 s8, v4
	v_readfirstlane_b32 s9, v5
	s_add_nc_u64 s[0:1], s[8:9], 1
	s_delay_alu instid0(SALU_CYCLE_1) | instskip(NEXT) | instid1(SALU_CYCLE_1)
	s_add_nc_u64 s[4:5], s[0:1], s[4:5]
	s_cmp_eq_u64 s[4:5], 0
	s_cselect_b32 s1, s1, s5
	s_cselect_b32 s0, s0, s4
	v_mov_b32_e32 v11, s1
	s_and_b64 s[4:5], s[0:1], s[8:9]
	v_mov_b32_e32 v10, s0
	s_mul_u64 s[4:5], s[4:5], 24
	s_wait_loadcnt 0x0
	v_add_nc_u64_e32 v[8:9], s[4:5], v[6:7]
	global_store_b64 v[8:9], v[12:13], off
	global_wb scope:SCOPE_SYS
	s_wait_storecnt 0x0
	s_wait_xcnt 0x0
	global_atomic_cmpswap_b64 v[6:7], v1, v[10:13], s[2:3] offset:24 th:TH_ATOMIC_RETURN scope:SCOPE_SYS
	s_wait_loadcnt 0x0
	v_cmp_ne_u64_e32 vcc_lo, v[6:7], v[12:13]
	s_and_b32 exec_lo, exec_lo, vcc_lo
	s_cbranch_execz .LBB6_2427
; %bb.2425:
	s_mov_b32 s4, 0
.LBB6_2426:                             ; =>This Inner Loop Header: Depth=1
	v_dual_mov_b32 v4, s0 :: v_dual_mov_b32 v5, s1
	s_sleep 1
	global_store_b64 v[8:9], v[6:7], off
	global_wb scope:SCOPE_SYS
	s_wait_storecnt 0x0
	s_wait_xcnt 0x0
	global_atomic_cmpswap_b64 v[4:5], v1, v[4:7], s[2:3] offset:24 th:TH_ATOMIC_RETURN scope:SCOPE_SYS
	s_wait_loadcnt 0x0
	v_cmp_eq_u64_e32 vcc_lo, v[4:5], v[6:7]
	v_mov_b64_e32 v[6:7], v[4:5]
	s_or_b32 s4, vcc_lo, s4
	s_delay_alu instid0(SALU_CYCLE_1)
	s_and_not1_b32 exec_lo, exec_lo, s4
	s_cbranch_execnz .LBB6_2426
.LBB6_2427:
	s_or_b32 exec_lo, exec_lo, s6
	s_get_pc_i64 s[4:5]
	s_add_nc_u64 s[4:5], s[4:5], .str.28@rel64+4
	s_delay_alu instid0(SALU_CYCLE_1)
	s_cmp_lg_u64 s[4:5], 0
	s_cbranch_scc0 .LBB6_2506
; %bb.2428:
	v_mov_b64_e32 v[6:7], 0x100000002
	s_wait_loadcnt 0x0
	v_dual_mov_b32 v9, v3 :: v_dual_bitop2_b32 v8, -3, v2 bitop3:0x40
	v_mov_b32_e32 v5, 0
	s_mov_b64 s[6:7], 35
	s_branch .LBB6_2430
.LBB6_2429:                             ;   in Loop: Header=BB6_2430 Depth=1
	s_or_b32 exec_lo, exec_lo, s12
	s_sub_nc_u64 s[6:7], s[6:7], s[8:9]
	s_add_nc_u64 s[4:5], s[4:5], s[8:9]
	s_cmp_lg_u64 s[6:7], 0
	s_cbranch_scc0 .LBB6_2505
.LBB6_2430:                             ; =>This Loop Header: Depth=1
                                        ;     Child Loop BB6_2433 Depth 2
                                        ;     Child Loop BB6_2440 Depth 2
	;; [unrolled: 1-line block ×11, first 2 shown]
	s_wait_loadcnt 0x0
	v_min_u64 v[10:11], s[6:7], 56
	v_cmp_gt_u64_e64 s0, s[6:7], 7
	s_and_b32 vcc_lo, exec_lo, s0
	v_readfirstlane_b32 s8, v10
	v_readfirstlane_b32 s9, v11
	s_cbranch_vccnz .LBB6_2435
; %bb.2431:                             ;   in Loop: Header=BB6_2430 Depth=1
	v_mov_b64_e32 v[10:11], 0
	s_cmp_eq_u64 s[6:7], 0
	s_cbranch_scc1 .LBB6_2434
; %bb.2432:                             ;   in Loop: Header=BB6_2430 Depth=1
	s_mov_b64 s[0:1], 0
	s_mov_b64 s[10:11], 0
.LBB6_2433:                             ;   Parent Loop BB6_2430 Depth=1
                                        ; =>  This Inner Loop Header: Depth=2
	s_wait_xcnt 0x0
	s_add_nc_u64 s[12:13], s[4:5], s[10:11]
	s_add_nc_u64 s[10:11], s[10:11], 1
	global_load_u8 v1, v5, s[12:13]
	s_cmp_lg_u32 s8, s10
	s_wait_loadcnt 0x0
	v_and_b32_e32 v4, 0xffff, v1
	s_delay_alu instid0(VALU_DEP_1) | instskip(SKIP_1) | instid1(VALU_DEP_1)
	v_lshlrev_b64_e32 v[12:13], s0, v[4:5]
	s_add_nc_u64 s[0:1], s[0:1], 8
	v_or_b32_e32 v10, v12, v10
	s_delay_alu instid0(VALU_DEP_2)
	v_or_b32_e32 v11, v13, v11
	s_cbranch_scc1 .LBB6_2433
.LBB6_2434:                             ;   in Loop: Header=BB6_2430 Depth=1
	s_mov_b64 s[10:11], s[4:5]
	s_mov_b32 s14, 0
	s_cbranch_execz .LBB6_2436
	s_branch .LBB6_2437
.LBB6_2435:                             ;   in Loop: Header=BB6_2430 Depth=1
	s_add_nc_u64 s[10:11], s[4:5], 8
	s_mov_b32 s14, 0
.LBB6_2436:                             ;   in Loop: Header=BB6_2430 Depth=1
	global_load_b64 v[10:11], v5, s[4:5]
	s_add_co_i32 s14, s8, -8
.LBB6_2437:                             ;   in Loop: Header=BB6_2430 Depth=1
	s_delay_alu instid0(SALU_CYCLE_1)
	s_cmp_gt_u32 s14, 7
	s_cbranch_scc1 .LBB6_2442
; %bb.2438:                             ;   in Loop: Header=BB6_2430 Depth=1
	v_mov_b64_e32 v[12:13], 0
	s_cmp_eq_u32 s14, 0
	s_cbranch_scc1 .LBB6_2441
; %bb.2439:                             ;   in Loop: Header=BB6_2430 Depth=1
	s_mov_b64 s[0:1], 0
	s_wait_xcnt 0x0
	s_mov_b64 s[12:13], 0
.LBB6_2440:                             ;   Parent Loop BB6_2430 Depth=1
                                        ; =>  This Inner Loop Header: Depth=2
	s_wait_xcnt 0x0
	s_add_nc_u64 s[28:29], s[10:11], s[12:13]
	s_add_nc_u64 s[12:13], s[12:13], 1
	global_load_u8 v1, v5, s[28:29]
	s_cmp_lg_u32 s14, s12
	s_wait_loadcnt 0x0
	v_and_b32_e32 v4, 0xffff, v1
	s_delay_alu instid0(VALU_DEP_1) | instskip(SKIP_1) | instid1(VALU_DEP_1)
	v_lshlrev_b64_e32 v[14:15], s0, v[4:5]
	s_add_nc_u64 s[0:1], s[0:1], 8
	v_or_b32_e32 v12, v14, v12
	s_delay_alu instid0(VALU_DEP_2)
	v_or_b32_e32 v13, v15, v13
	s_cbranch_scc1 .LBB6_2440
.LBB6_2441:                             ;   in Loop: Header=BB6_2430 Depth=1
	s_wait_xcnt 0x0
	s_mov_b64 s[0:1], s[10:11]
	s_mov_b32 s15, 0
	s_cbranch_execz .LBB6_2443
	s_branch .LBB6_2444
.LBB6_2442:                             ;   in Loop: Header=BB6_2430 Depth=1
	s_add_nc_u64 s[0:1], s[10:11], 8
	s_wait_xcnt 0x0
                                        ; implicit-def: $vgpr12_vgpr13
	s_mov_b32 s15, 0
.LBB6_2443:                             ;   in Loop: Header=BB6_2430 Depth=1
	global_load_b64 v[12:13], v5, s[10:11]
	s_add_co_i32 s15, s14, -8
.LBB6_2444:                             ;   in Loop: Header=BB6_2430 Depth=1
	s_delay_alu instid0(SALU_CYCLE_1)
	s_cmp_gt_u32 s15, 7
	s_cbranch_scc1 .LBB6_2449
; %bb.2445:                             ;   in Loop: Header=BB6_2430 Depth=1
	v_mov_b64_e32 v[14:15], 0
	s_cmp_eq_u32 s15, 0
	s_cbranch_scc1 .LBB6_2448
; %bb.2446:                             ;   in Loop: Header=BB6_2430 Depth=1
	s_wait_xcnt 0x0
	s_mov_b64 s[10:11], 0
	s_mov_b64 s[12:13], 0
.LBB6_2447:                             ;   Parent Loop BB6_2430 Depth=1
                                        ; =>  This Inner Loop Header: Depth=2
	s_wait_xcnt 0x0
	s_add_nc_u64 s[28:29], s[0:1], s[12:13]
	s_add_nc_u64 s[12:13], s[12:13], 1
	global_load_u8 v1, v5, s[28:29]
	s_cmp_lg_u32 s15, s12
	s_wait_loadcnt 0x0
	v_and_b32_e32 v4, 0xffff, v1
	s_delay_alu instid0(VALU_DEP_1) | instskip(SKIP_1) | instid1(VALU_DEP_1)
	v_lshlrev_b64_e32 v[16:17], s10, v[4:5]
	s_add_nc_u64 s[10:11], s[10:11], 8
	v_or_b32_e32 v14, v16, v14
	s_delay_alu instid0(VALU_DEP_2)
	v_or_b32_e32 v15, v17, v15
	s_cbranch_scc1 .LBB6_2447
.LBB6_2448:                             ;   in Loop: Header=BB6_2430 Depth=1
	s_wait_xcnt 0x0
	s_mov_b64 s[10:11], s[0:1]
	s_mov_b32 s14, 0
	s_cbranch_execz .LBB6_2450
	s_branch .LBB6_2451
.LBB6_2449:                             ;   in Loop: Header=BB6_2430 Depth=1
	s_wait_xcnt 0x0
	s_add_nc_u64 s[10:11], s[0:1], 8
	s_mov_b32 s14, 0
.LBB6_2450:                             ;   in Loop: Header=BB6_2430 Depth=1
	global_load_b64 v[14:15], v5, s[0:1]
	s_add_co_i32 s14, s15, -8
.LBB6_2451:                             ;   in Loop: Header=BB6_2430 Depth=1
	s_delay_alu instid0(SALU_CYCLE_1)
	s_cmp_gt_u32 s14, 7
	s_cbranch_scc1 .LBB6_2456
; %bb.2452:                             ;   in Loop: Header=BB6_2430 Depth=1
	v_mov_b64_e32 v[16:17], 0
	s_cmp_eq_u32 s14, 0
	s_cbranch_scc1 .LBB6_2455
; %bb.2453:                             ;   in Loop: Header=BB6_2430 Depth=1
	s_wait_xcnt 0x0
	s_mov_b64 s[0:1], 0
	s_mov_b64 s[12:13], 0
.LBB6_2454:                             ;   Parent Loop BB6_2430 Depth=1
                                        ; =>  This Inner Loop Header: Depth=2
	s_wait_xcnt 0x0
	s_add_nc_u64 s[28:29], s[10:11], s[12:13]
	s_add_nc_u64 s[12:13], s[12:13], 1
	global_load_u8 v1, v5, s[28:29]
	s_cmp_lg_u32 s14, s12
	s_wait_loadcnt 0x0
	v_and_b32_e32 v4, 0xffff, v1
	s_delay_alu instid0(VALU_DEP_1) | instskip(SKIP_1) | instid1(VALU_DEP_1)
	v_lshlrev_b64_e32 v[18:19], s0, v[4:5]
	s_add_nc_u64 s[0:1], s[0:1], 8
	v_or_b32_e32 v16, v18, v16
	s_delay_alu instid0(VALU_DEP_2)
	v_or_b32_e32 v17, v19, v17
	s_cbranch_scc1 .LBB6_2454
.LBB6_2455:                             ;   in Loop: Header=BB6_2430 Depth=1
	s_wait_xcnt 0x0
	s_mov_b64 s[0:1], s[10:11]
	s_mov_b32 s15, 0
	s_cbranch_execz .LBB6_2457
	s_branch .LBB6_2458
.LBB6_2456:                             ;   in Loop: Header=BB6_2430 Depth=1
	s_wait_xcnt 0x0
	s_add_nc_u64 s[0:1], s[10:11], 8
                                        ; implicit-def: $vgpr16_vgpr17
	s_mov_b32 s15, 0
.LBB6_2457:                             ;   in Loop: Header=BB6_2430 Depth=1
	global_load_b64 v[16:17], v5, s[10:11]
	s_add_co_i32 s15, s14, -8
.LBB6_2458:                             ;   in Loop: Header=BB6_2430 Depth=1
	s_delay_alu instid0(SALU_CYCLE_1)
	s_cmp_gt_u32 s15, 7
	s_cbranch_scc1 .LBB6_2463
; %bb.2459:                             ;   in Loop: Header=BB6_2430 Depth=1
	v_mov_b64_e32 v[18:19], 0
	s_cmp_eq_u32 s15, 0
	s_cbranch_scc1 .LBB6_2462
; %bb.2460:                             ;   in Loop: Header=BB6_2430 Depth=1
	s_wait_xcnt 0x0
	s_mov_b64 s[10:11], 0
	s_mov_b64 s[12:13], 0
.LBB6_2461:                             ;   Parent Loop BB6_2430 Depth=1
                                        ; =>  This Inner Loop Header: Depth=2
	s_wait_xcnt 0x0
	s_add_nc_u64 s[28:29], s[0:1], s[12:13]
	s_add_nc_u64 s[12:13], s[12:13], 1
	global_load_u8 v1, v5, s[28:29]
	s_cmp_lg_u32 s15, s12
	s_wait_loadcnt 0x0
	v_and_b32_e32 v4, 0xffff, v1
	s_delay_alu instid0(VALU_DEP_1) | instskip(SKIP_1) | instid1(VALU_DEP_1)
	v_lshlrev_b64_e32 v[20:21], s10, v[4:5]
	s_add_nc_u64 s[10:11], s[10:11], 8
	v_or_b32_e32 v18, v20, v18
	s_delay_alu instid0(VALU_DEP_2)
	v_or_b32_e32 v19, v21, v19
	s_cbranch_scc1 .LBB6_2461
.LBB6_2462:                             ;   in Loop: Header=BB6_2430 Depth=1
	s_wait_xcnt 0x0
	s_mov_b64 s[10:11], s[0:1]
	s_mov_b32 s14, 0
	s_cbranch_execz .LBB6_2464
	s_branch .LBB6_2465
.LBB6_2463:                             ;   in Loop: Header=BB6_2430 Depth=1
	s_wait_xcnt 0x0
	s_add_nc_u64 s[10:11], s[0:1], 8
	s_mov_b32 s14, 0
.LBB6_2464:                             ;   in Loop: Header=BB6_2430 Depth=1
	global_load_b64 v[18:19], v5, s[0:1]
	s_add_co_i32 s14, s15, -8
.LBB6_2465:                             ;   in Loop: Header=BB6_2430 Depth=1
	s_delay_alu instid0(SALU_CYCLE_1)
	s_cmp_gt_u32 s14, 7
	s_cbranch_scc1 .LBB6_2470
; %bb.2466:                             ;   in Loop: Header=BB6_2430 Depth=1
	v_mov_b64_e32 v[20:21], 0
	s_cmp_eq_u32 s14, 0
	s_cbranch_scc1 .LBB6_2469
; %bb.2467:                             ;   in Loop: Header=BB6_2430 Depth=1
	s_wait_xcnt 0x0
	s_mov_b64 s[0:1], 0
	s_mov_b64 s[12:13], 0
.LBB6_2468:                             ;   Parent Loop BB6_2430 Depth=1
                                        ; =>  This Inner Loop Header: Depth=2
	s_wait_xcnt 0x0
	s_add_nc_u64 s[28:29], s[10:11], s[12:13]
	s_add_nc_u64 s[12:13], s[12:13], 1
	global_load_u8 v1, v5, s[28:29]
	s_cmp_lg_u32 s14, s12
	s_wait_loadcnt 0x0
	v_and_b32_e32 v4, 0xffff, v1
	s_delay_alu instid0(VALU_DEP_1) | instskip(SKIP_1) | instid1(VALU_DEP_1)
	v_lshlrev_b64_e32 v[22:23], s0, v[4:5]
	s_add_nc_u64 s[0:1], s[0:1], 8
	v_or_b32_e32 v20, v22, v20
	s_delay_alu instid0(VALU_DEP_2)
	v_or_b32_e32 v21, v23, v21
	s_cbranch_scc1 .LBB6_2468
.LBB6_2469:                             ;   in Loop: Header=BB6_2430 Depth=1
	s_wait_xcnt 0x0
	s_mov_b64 s[0:1], s[10:11]
	s_mov_b32 s15, 0
	s_cbranch_execz .LBB6_2471
	s_branch .LBB6_2472
.LBB6_2470:                             ;   in Loop: Header=BB6_2430 Depth=1
	s_wait_xcnt 0x0
	s_add_nc_u64 s[0:1], s[10:11], 8
                                        ; implicit-def: $vgpr20_vgpr21
	s_mov_b32 s15, 0
.LBB6_2471:                             ;   in Loop: Header=BB6_2430 Depth=1
	global_load_b64 v[20:21], v5, s[10:11]
	s_add_co_i32 s15, s14, -8
.LBB6_2472:                             ;   in Loop: Header=BB6_2430 Depth=1
	s_delay_alu instid0(SALU_CYCLE_1)
	s_cmp_gt_u32 s15, 7
	s_cbranch_scc1 .LBB6_2477
; %bb.2473:                             ;   in Loop: Header=BB6_2430 Depth=1
	v_mov_b64_e32 v[22:23], 0
	s_cmp_eq_u32 s15, 0
	s_cbranch_scc1 .LBB6_2476
; %bb.2474:                             ;   in Loop: Header=BB6_2430 Depth=1
	s_wait_xcnt 0x0
	s_mov_b64 s[10:11], 0
	s_mov_b64 s[12:13], s[0:1]
.LBB6_2475:                             ;   Parent Loop BB6_2430 Depth=1
                                        ; =>  This Inner Loop Header: Depth=2
	global_load_u8 v1, v5, s[12:13]
	s_add_co_i32 s15, s15, -1
	s_wait_xcnt 0x0
	s_add_nc_u64 s[12:13], s[12:13], 1
	s_cmp_lg_u32 s15, 0
	s_wait_loadcnt 0x0
	v_and_b32_e32 v4, 0xffff, v1
	s_delay_alu instid0(VALU_DEP_1) | instskip(SKIP_1) | instid1(VALU_DEP_1)
	v_lshlrev_b64_e32 v[24:25], s10, v[4:5]
	s_add_nc_u64 s[10:11], s[10:11], 8
	v_or_b32_e32 v22, v24, v22
	s_delay_alu instid0(VALU_DEP_2)
	v_or_b32_e32 v23, v25, v23
	s_cbranch_scc1 .LBB6_2475
.LBB6_2476:                             ;   in Loop: Header=BB6_2430 Depth=1
	s_wait_xcnt 0x0
	s_cbranch_execz .LBB6_2478
	s_branch .LBB6_2479
.LBB6_2477:                             ;   in Loop: Header=BB6_2430 Depth=1
	s_wait_xcnt 0x0
.LBB6_2478:                             ;   in Loop: Header=BB6_2430 Depth=1
	global_load_b64 v[22:23], v5, s[0:1]
.LBB6_2479:                             ;   in Loop: Header=BB6_2430 Depth=1
	s_wait_xcnt 0x0
	v_readfirstlane_b32 s0, v32
	v_mov_b64_e32 v[28:29], 0
	s_delay_alu instid0(VALU_DEP_2)
	v_cmp_eq_u32_e64 s0, s0, v32
	s_and_saveexec_b32 s1, s0
	s_cbranch_execz .LBB6_2485
; %bb.2480:                             ;   in Loop: Header=BB6_2430 Depth=1
	global_load_b64 v[26:27], v5, s[2:3] offset:24 scope:SCOPE_SYS
	s_wait_loadcnt 0x0
	global_inv scope:SCOPE_SYS
	s_clause 0x1
	global_load_b64 v[24:25], v5, s[2:3] offset:40
	global_load_b64 v[28:29], v5, s[2:3]
	s_mov_b32 s10, exec_lo
	s_wait_loadcnt 0x1
	v_and_b32_e32 v24, v24, v26
	v_and_b32_e32 v25, v25, v27
	s_delay_alu instid0(VALU_DEP_1) | instskip(SKIP_1) | instid1(VALU_DEP_1)
	v_mul_u64_e32 v[24:25], 24, v[24:25]
	s_wait_loadcnt 0x0
	v_add_nc_u64_e32 v[24:25], v[28:29], v[24:25]
	global_load_b64 v[24:25], v[24:25], off scope:SCOPE_SYS
	s_wait_xcnt 0x0
	s_wait_loadcnt 0x0
	global_atomic_cmpswap_b64 v[28:29], v5, v[24:27], s[2:3] offset:24 th:TH_ATOMIC_RETURN scope:SCOPE_SYS
	s_wait_loadcnt 0x0
	global_inv scope:SCOPE_SYS
	s_wait_xcnt 0x0
	v_cmpx_ne_u64_e64 v[28:29], v[26:27]
	s_cbranch_execz .LBB6_2484
; %bb.2481:                             ;   in Loop: Header=BB6_2430 Depth=1
	s_mov_b32 s11, 0
.LBB6_2482:                             ;   Parent Loop BB6_2430 Depth=1
                                        ; =>  This Inner Loop Header: Depth=2
	s_sleep 1
	s_clause 0x1
	global_load_b64 v[24:25], v5, s[2:3] offset:40
	global_load_b64 v[30:31], v5, s[2:3]
	v_mov_b64_e32 v[26:27], v[28:29]
	s_wait_loadcnt 0x1
	s_delay_alu instid0(VALU_DEP_1) | instskip(SKIP_1) | instid1(VALU_DEP_1)
	v_and_b32_e32 v1, v24, v26
	s_wait_loadcnt 0x0
	v_mad_nc_u64_u32 v[28:29], v1, 24, v[30:31]
	s_delay_alu instid0(VALU_DEP_3) | instskip(NEXT) | instid1(VALU_DEP_1)
	v_and_b32_e32 v1, v25, v27
	v_mad_u32 v29, v1, 24, v29
	global_load_b64 v[24:25], v[28:29], off scope:SCOPE_SYS
	s_wait_xcnt 0x0
	s_wait_loadcnt 0x0
	global_atomic_cmpswap_b64 v[28:29], v5, v[24:27], s[2:3] offset:24 th:TH_ATOMIC_RETURN scope:SCOPE_SYS
	s_wait_loadcnt 0x0
	global_inv scope:SCOPE_SYS
	v_cmp_eq_u64_e32 vcc_lo, v[28:29], v[26:27]
	s_or_b32 s11, vcc_lo, s11
	s_wait_xcnt 0x0
	s_and_not1_b32 exec_lo, exec_lo, s11
	s_cbranch_execnz .LBB6_2482
; %bb.2483:                             ;   in Loop: Header=BB6_2430 Depth=1
	s_or_b32 exec_lo, exec_lo, s11
.LBB6_2484:                             ;   in Loop: Header=BB6_2430 Depth=1
	s_delay_alu instid0(SALU_CYCLE_1)
	s_or_b32 exec_lo, exec_lo, s10
.LBB6_2485:                             ;   in Loop: Header=BB6_2430 Depth=1
	s_delay_alu instid0(SALU_CYCLE_1)
	s_or_b32 exec_lo, exec_lo, s1
	s_clause 0x1
	global_load_b64 v[30:31], v5, s[2:3] offset:40
	global_load_b128 v[24:27], v5, s[2:3]
	v_readfirstlane_b32 s10, v28
	v_readfirstlane_b32 s11, v29
	s_mov_b32 s1, exec_lo
	s_wait_loadcnt 0x1
	v_and_b32_e32 v30, s10, v30
	v_and_b32_e32 v31, s11, v31
	s_delay_alu instid0(VALU_DEP_1) | instskip(SKIP_1) | instid1(VALU_DEP_1)
	v_mul_u64_e32 v[28:29], 24, v[30:31]
	s_wait_loadcnt 0x0
	v_add_nc_u64_e32 v[28:29], v[24:25], v[28:29]
	s_wait_xcnt 0x0
	s_and_saveexec_b32 s12, s0
	s_cbranch_execz .LBB6_2487
; %bb.2486:                             ;   in Loop: Header=BB6_2430 Depth=1
	v_mov_b32_e32 v4, s1
	global_store_b128 v[28:29], v[4:7], off offset:8
.LBB6_2487:                             ;   in Loop: Header=BB6_2430 Depth=1
	s_wait_xcnt 0x0
	s_or_b32 exec_lo, exec_lo, s12
	v_cmp_gt_u64_e64 s1, s[6:7], 56
	v_lshlrev_b64_e32 v[30:31], 12, v[30:31]
	v_and_b32_e32 v1, 0xffffff1f, v8
	s_and_b32 s1, s1, exec_lo
	s_delay_alu instid0(VALU_DEP_2) | instskip(SKIP_4) | instid1(VALU_DEP_2)
	v_add_nc_u64_e32 v[26:27], v[26:27], v[30:31]
	s_cselect_b32 s1, 0, 2
	s_lshl_b32 s12, s8, 2
	v_or_b32_e32 v1, s1, v1
	s_add_co_i32 s1, s12, 28
	v_readfirstlane_b32 s12, v26
	s_delay_alu instid0(VALU_DEP_3) | instskip(NEXT) | instid1(VALU_DEP_3)
	v_readfirstlane_b32 s13, v27
	v_and_or_b32 v8, 0x1e0, s1, v1
	s_clause 0x3
	global_store_b128 v0, v[8:11], s[12:13]
	global_store_b128 v0, v[12:15], s[12:13] offset:16
	global_store_b128 v0, v[16:19], s[12:13] offset:32
	;; [unrolled: 1-line block ×3, first 2 shown]
	s_wait_xcnt 0x0
	s_and_saveexec_b32 s1, s0
	s_cbranch_execz .LBB6_2495
; %bb.2488:                             ;   in Loop: Header=BB6_2430 Depth=1
	s_clause 0x1
	global_load_b64 v[16:17], v5, s[2:3] offset:32 scope:SCOPE_SYS
	global_load_b64 v[8:9], v5, s[2:3] offset:40
	s_mov_b32 s12, exec_lo
	v_dual_mov_b32 v14, s10 :: v_dual_mov_b32 v15, s11
	s_wait_loadcnt 0x0
	v_and_b32_e32 v9, s11, v9
	v_and_b32_e32 v8, s10, v8
	s_delay_alu instid0(VALU_DEP_1) | instskip(NEXT) | instid1(VALU_DEP_1)
	v_mul_u64_e32 v[8:9], 24, v[8:9]
	v_add_nc_u64_e32 v[12:13], v[24:25], v[8:9]
	global_store_b64 v[12:13], v[16:17], off
	global_wb scope:SCOPE_SYS
	s_wait_storecnt 0x0
	s_wait_xcnt 0x0
	global_atomic_cmpswap_b64 v[10:11], v5, v[14:17], s[2:3] offset:32 th:TH_ATOMIC_RETURN scope:SCOPE_SYS
	s_wait_loadcnt 0x0
	v_cmpx_ne_u64_e64 v[10:11], v[16:17]
	s_cbranch_execz .LBB6_2491
; %bb.2489:                             ;   in Loop: Header=BB6_2430 Depth=1
	s_mov_b32 s13, 0
.LBB6_2490:                             ;   Parent Loop BB6_2430 Depth=1
                                        ; =>  This Inner Loop Header: Depth=2
	v_dual_mov_b32 v8, s10 :: v_dual_mov_b32 v9, s11
	s_sleep 1
	global_store_b64 v[12:13], v[10:11], off
	global_wb scope:SCOPE_SYS
	s_wait_storecnt 0x0
	s_wait_xcnt 0x0
	global_atomic_cmpswap_b64 v[8:9], v5, v[8:11], s[2:3] offset:32 th:TH_ATOMIC_RETURN scope:SCOPE_SYS
	s_wait_loadcnt 0x0
	v_cmp_eq_u64_e32 vcc_lo, v[8:9], v[10:11]
	v_mov_b64_e32 v[10:11], v[8:9]
	s_or_b32 s13, vcc_lo, s13
	s_delay_alu instid0(SALU_CYCLE_1)
	s_and_not1_b32 exec_lo, exec_lo, s13
	s_cbranch_execnz .LBB6_2490
.LBB6_2491:                             ;   in Loop: Header=BB6_2430 Depth=1
	s_or_b32 exec_lo, exec_lo, s12
	global_load_b64 v[8:9], v5, s[2:3] offset:16
	s_mov_b32 s13, exec_lo
	s_mov_b32 s12, exec_lo
	v_mbcnt_lo_u32_b32 v1, s13, 0
	s_wait_xcnt 0x0
	s_delay_alu instid0(VALU_DEP_1)
	v_cmpx_eq_u32_e32 0, v1
	s_cbranch_execz .LBB6_2493
; %bb.2492:                             ;   in Loop: Header=BB6_2430 Depth=1
	s_bcnt1_i32_b32 s13, s13
	s_delay_alu instid0(SALU_CYCLE_1)
	v_mov_b32_e32 v4, s13
	global_wb scope:SCOPE_SYS
	s_wait_loadcnt 0x0
	s_wait_storecnt 0x0
	global_atomic_add_u64 v[8:9], v[4:5], off offset:8 scope:SCOPE_SYS
.LBB6_2493:                             ;   in Loop: Header=BB6_2430 Depth=1
	s_wait_xcnt 0x0
	s_or_b32 exec_lo, exec_lo, s12
	s_wait_loadcnt 0x0
	global_load_b64 v[10:11], v[8:9], off offset:16
	s_wait_loadcnt 0x0
	v_cmp_eq_u64_e32 vcc_lo, 0, v[10:11]
	s_cbranch_vccnz .LBB6_2495
; %bb.2494:                             ;   in Loop: Header=BB6_2430 Depth=1
	global_load_b32 v4, v[8:9], off offset:24
	s_wait_loadcnt 0x0
	v_readfirstlane_b32 s12, v4
	global_wb scope:SCOPE_SYS
	s_wait_storecnt 0x0
	s_wait_xcnt 0x0
	global_store_b64 v[10:11], v[4:5], off scope:SCOPE_SYS
	s_and_b32 m0, s12, 0xffffff
	s_sendmsg sendmsg(MSG_INTERRUPT)
.LBB6_2495:                             ;   in Loop: Header=BB6_2430 Depth=1
	s_wait_xcnt 0x0
	s_or_b32 exec_lo, exec_lo, s1
	v_mov_b32_e32 v1, v5
	s_delay_alu instid0(VALU_DEP_1)
	v_add_nc_u64_e32 v[8:9], v[26:27], v[0:1]
	s_branch .LBB6_2499
.LBB6_2496:                             ;   in Loop: Header=BB6_2499 Depth=2
	s_wait_xcnt 0x0
	s_or_b32 exec_lo, exec_lo, s1
	s_delay_alu instid0(VALU_DEP_1)
	v_readfirstlane_b32 s1, v1
	s_cmp_eq_u32 s1, 0
	s_cbranch_scc1 .LBB6_2498
; %bb.2497:                             ;   in Loop: Header=BB6_2499 Depth=2
	s_sleep 1
	s_cbranch_execnz .LBB6_2499
	s_branch .LBB6_2501
.LBB6_2498:                             ;   in Loop: Header=BB6_2430 Depth=1
	s_branch .LBB6_2501
.LBB6_2499:                             ;   Parent Loop BB6_2430 Depth=1
                                        ; =>  This Inner Loop Header: Depth=2
	v_mov_b32_e32 v1, 1
	s_and_saveexec_b32 s1, s0
	s_cbranch_execz .LBB6_2496
; %bb.2500:                             ;   in Loop: Header=BB6_2499 Depth=2
	global_load_b32 v1, v[28:29], off offset:20 scope:SCOPE_SYS
	s_wait_loadcnt 0x0
	global_inv scope:SCOPE_SYS
	v_and_b32_e32 v1, 1, v1
	s_branch .LBB6_2496
.LBB6_2501:                             ;   in Loop: Header=BB6_2430 Depth=1
	global_load_b128 v[8:11], v[8:9], off
	s_wait_xcnt 0x0
	s_and_saveexec_b32 s12, s0
	s_cbranch_execz .LBB6_2429
; %bb.2502:                             ;   in Loop: Header=BB6_2430 Depth=1
	s_wait_loadcnt 0x0
	s_clause 0x2
	global_load_b64 v[10:11], v5, s[2:3] offset:40
	global_load_b64 v[18:19], v5, s[2:3] offset:24 scope:SCOPE_SYS
	global_load_b64 v[12:13], v5, s[2:3]
	s_wait_loadcnt 0x2
	v_readfirstlane_b32 s14, v10
	v_readfirstlane_b32 s15, v11
	s_add_nc_u64 s[0:1], s[14:15], 1
	s_delay_alu instid0(SALU_CYCLE_1) | instskip(NEXT) | instid1(SALU_CYCLE_1)
	s_add_nc_u64 s[10:11], s[0:1], s[10:11]
	s_cmp_eq_u64 s[10:11], 0
	s_cselect_b32 s1, s1, s11
	s_cselect_b32 s0, s0, s10
	s_delay_alu instid0(SALU_CYCLE_1) | instskip(SKIP_1) | instid1(SALU_CYCLE_1)
	v_dual_mov_b32 v17, s1 :: v_dual_mov_b32 v16, s0
	s_and_b64 s[10:11], s[0:1], s[14:15]
	s_mul_u64 s[10:11], s[10:11], 24
	s_wait_loadcnt 0x0
	v_add_nc_u64_e32 v[14:15], s[10:11], v[12:13]
	global_store_b64 v[14:15], v[18:19], off
	global_wb scope:SCOPE_SYS
	s_wait_storecnt 0x0
	s_wait_xcnt 0x0
	global_atomic_cmpswap_b64 v[12:13], v5, v[16:19], s[2:3] offset:24 th:TH_ATOMIC_RETURN scope:SCOPE_SYS
	s_wait_loadcnt 0x0
	v_cmp_ne_u64_e32 vcc_lo, v[12:13], v[18:19]
	s_and_b32 exec_lo, exec_lo, vcc_lo
	s_cbranch_execz .LBB6_2429
; %bb.2503:                             ;   in Loop: Header=BB6_2430 Depth=1
	s_mov_b32 s10, 0
.LBB6_2504:                             ;   Parent Loop BB6_2430 Depth=1
                                        ; =>  This Inner Loop Header: Depth=2
	v_dual_mov_b32 v10, s0 :: v_dual_mov_b32 v11, s1
	s_sleep 1
	global_store_b64 v[14:15], v[12:13], off
	global_wb scope:SCOPE_SYS
	s_wait_storecnt 0x0
	s_wait_xcnt 0x0
	global_atomic_cmpswap_b64 v[10:11], v5, v[10:13], s[2:3] offset:24 th:TH_ATOMIC_RETURN scope:SCOPE_SYS
	s_wait_loadcnt 0x0
	v_cmp_eq_u64_e32 vcc_lo, v[10:11], v[12:13]
	v_mov_b64_e32 v[12:13], v[10:11]
	s_or_b32 s10, vcc_lo, s10
	s_delay_alu instid0(SALU_CYCLE_1)
	s_and_not1_b32 exec_lo, exec_lo, s10
	s_cbranch_execnz .LBB6_2504
	s_branch .LBB6_2429
.LBB6_2505:
	s_mov_b32 s0, 0
	s_branch .LBB6_2507
.LBB6_2506:
	s_mov_b32 s0, -1
.LBB6_2507:
	s_delay_alu instid0(SALU_CYCLE_1)
	s_and_b32 vcc_lo, exec_lo, s0
	s_cbranch_vccz .LBB6_2535
; %bb.2508:
	v_readfirstlane_b32 s0, v32
	s_wait_loadcnt 0x0
	v_mov_b64_e32 v[10:11], 0
	s_delay_alu instid0(VALU_DEP_2)
	v_cmp_eq_u32_e64 s0, s0, v32
	s_and_saveexec_b32 s1, s0
	s_cbranch_execz .LBB6_2514
; %bb.2509:
	v_mov_b32_e32 v1, 0
	s_mov_b32 s4, exec_lo
	global_load_b64 v[6:7], v1, s[2:3] offset:24 scope:SCOPE_SYS
	s_wait_loadcnt 0x0
	global_inv scope:SCOPE_SYS
	s_clause 0x1
	global_load_b64 v[4:5], v1, s[2:3] offset:40
	global_load_b64 v[8:9], v1, s[2:3]
	s_wait_loadcnt 0x1
	v_and_b32_e32 v4, v4, v6
	v_and_b32_e32 v5, v5, v7
	s_delay_alu instid0(VALU_DEP_1) | instskip(SKIP_1) | instid1(VALU_DEP_1)
	v_mul_u64_e32 v[4:5], 24, v[4:5]
	s_wait_loadcnt 0x0
	v_add_nc_u64_e32 v[4:5], v[8:9], v[4:5]
	global_load_b64 v[4:5], v[4:5], off scope:SCOPE_SYS
	s_wait_xcnt 0x0
	s_wait_loadcnt 0x0
	global_atomic_cmpswap_b64 v[10:11], v1, v[4:7], s[2:3] offset:24 th:TH_ATOMIC_RETURN scope:SCOPE_SYS
	s_wait_loadcnt 0x0
	global_inv scope:SCOPE_SYS
	s_wait_xcnt 0x0
	v_cmpx_ne_u64_e64 v[10:11], v[6:7]
	s_cbranch_execz .LBB6_2513
; %bb.2510:
	s_mov_b32 s5, 0
.LBB6_2511:                             ; =>This Inner Loop Header: Depth=1
	s_sleep 1
	s_clause 0x1
	global_load_b64 v[4:5], v1, s[2:3] offset:40
	global_load_b64 v[8:9], v1, s[2:3]
	v_mov_b64_e32 v[6:7], v[10:11]
	s_wait_loadcnt 0x1
	s_delay_alu instid0(VALU_DEP_1) | instskip(SKIP_1) | instid1(VALU_DEP_1)
	v_and_b32_e32 v4, v4, v6
	s_wait_loadcnt 0x0
	v_mad_nc_u64_u32 v[8:9], v4, 24, v[8:9]
	s_delay_alu instid0(VALU_DEP_3) | instskip(NEXT) | instid1(VALU_DEP_1)
	v_and_b32_e32 v4, v5, v7
	v_mad_u32 v9, v4, 24, v9
	global_load_b64 v[4:5], v[8:9], off scope:SCOPE_SYS
	s_wait_xcnt 0x0
	s_wait_loadcnt 0x0
	global_atomic_cmpswap_b64 v[10:11], v1, v[4:7], s[2:3] offset:24 th:TH_ATOMIC_RETURN scope:SCOPE_SYS
	s_wait_loadcnt 0x0
	global_inv scope:SCOPE_SYS
	v_cmp_eq_u64_e32 vcc_lo, v[10:11], v[6:7]
	s_or_b32 s5, vcc_lo, s5
	s_wait_xcnt 0x0
	s_and_not1_b32 exec_lo, exec_lo, s5
	s_cbranch_execnz .LBB6_2511
; %bb.2512:
	s_or_b32 exec_lo, exec_lo, s5
.LBB6_2513:
	s_delay_alu instid0(SALU_CYCLE_1)
	s_or_b32 exec_lo, exec_lo, s4
.LBB6_2514:
	s_delay_alu instid0(SALU_CYCLE_1)
	s_or_b32 exec_lo, exec_lo, s1
	v_readfirstlane_b32 s4, v10
	v_mov_b32_e32 v4, 0
	v_readfirstlane_b32 s5, v11
	s_mov_b32 s1, exec_lo
	s_clause 0x1
	global_load_b64 v[12:13], v4, s[2:3] offset:40
	global_load_b128 v[6:9], v4, s[2:3]
	s_wait_loadcnt 0x1
	v_and_b32_e32 v12, s4, v12
	v_and_b32_e32 v13, s5, v13
	s_delay_alu instid0(VALU_DEP_1) | instskip(SKIP_1) | instid1(VALU_DEP_1)
	v_mul_u64_e32 v[10:11], 24, v[12:13]
	s_wait_loadcnt 0x0
	v_add_nc_u64_e32 v[10:11], v[6:7], v[10:11]
	s_wait_xcnt 0x0
	s_and_saveexec_b32 s6, s0
	s_cbranch_execz .LBB6_2516
; %bb.2515:
	v_mov_b64_e32 v[16:17], 0x100000002
	v_dual_mov_b32 v14, s1 :: v_dual_mov_b32 v15, v4
	global_store_b128 v[10:11], v[14:17], off offset:8
.LBB6_2516:
	s_wait_xcnt 0x0
	s_or_b32 exec_lo, exec_lo, s6
	v_lshlrev_b64_e32 v[12:13], 12, v[12:13]
	s_mov_b32 s8, 0
	v_and_or_b32 v2, 0xffffff1d, v2, 34
	s_mov_b32 s10, s8
	s_mov_b32 s11, s8
	;; [unrolled: 1-line block ×3, first 2 shown]
	v_mov_b32_e32 v5, v4
	v_add_nc_u64_e32 v[8:9], v[8:9], v[12:13]
	v_mov_b64_e32 v[14:15], s[10:11]
	v_mov_b64_e32 v[12:13], s[8:9]
	s_delay_alu instid0(VALU_DEP_3) | instskip(NEXT) | instid1(VALU_DEP_4)
	v_readfirstlane_b32 s6, v8
	v_readfirstlane_b32 s7, v9
	s_clause 0x3
	global_store_b128 v0, v[2:5], s[6:7]
	global_store_b128 v0, v[12:15], s[6:7] offset:16
	global_store_b128 v0, v[12:15], s[6:7] offset:32
	;; [unrolled: 1-line block ×3, first 2 shown]
	s_wait_xcnt 0x0
	s_and_saveexec_b32 s1, s0
	s_cbranch_execz .LBB6_2524
; %bb.2517:
	v_dual_mov_b32 v8, 0 :: v_dual_mov_b32 v13, s5
	s_mov_b32 s6, exec_lo
	s_clause 0x1
	global_load_b64 v[14:15], v8, s[2:3] offset:32 scope:SCOPE_SYS
	global_load_b64 v[0:1], v8, s[2:3] offset:40
	s_wait_loadcnt 0x0
	v_dual_mov_b32 v12, s4 :: v_dual_bitop2_b32 v1, s5, v1 bitop3:0x40
	v_and_b32_e32 v0, s4, v0
	s_delay_alu instid0(VALU_DEP_1) | instskip(NEXT) | instid1(VALU_DEP_1)
	v_mul_u64_e32 v[0:1], 24, v[0:1]
	v_add_nc_u64_e32 v[4:5], v[6:7], v[0:1]
	global_store_b64 v[4:5], v[14:15], off
	global_wb scope:SCOPE_SYS
	s_wait_storecnt 0x0
	s_wait_xcnt 0x0
	global_atomic_cmpswap_b64 v[2:3], v8, v[12:15], s[2:3] offset:32 th:TH_ATOMIC_RETURN scope:SCOPE_SYS
	s_wait_loadcnt 0x0
	v_cmpx_ne_u64_e64 v[2:3], v[14:15]
	s_cbranch_execz .LBB6_2520
; %bb.2518:
	s_mov_b32 s7, 0
.LBB6_2519:                             ; =>This Inner Loop Header: Depth=1
	v_dual_mov_b32 v0, s4 :: v_dual_mov_b32 v1, s5
	s_sleep 1
	global_store_b64 v[4:5], v[2:3], off
	global_wb scope:SCOPE_SYS
	s_wait_storecnt 0x0
	s_wait_xcnt 0x0
	global_atomic_cmpswap_b64 v[0:1], v8, v[0:3], s[2:3] offset:32 th:TH_ATOMIC_RETURN scope:SCOPE_SYS
	s_wait_loadcnt 0x0
	v_cmp_eq_u64_e32 vcc_lo, v[0:1], v[2:3]
	v_mov_b64_e32 v[2:3], v[0:1]
	s_or_b32 s7, vcc_lo, s7
	s_delay_alu instid0(SALU_CYCLE_1)
	s_and_not1_b32 exec_lo, exec_lo, s7
	s_cbranch_execnz .LBB6_2519
.LBB6_2520:
	s_or_b32 exec_lo, exec_lo, s6
	v_mov_b32_e32 v3, 0
	s_mov_b32 s7, exec_lo
	s_mov_b32 s6, exec_lo
	v_mbcnt_lo_u32_b32 v2, s7, 0
	global_load_b64 v[0:1], v3, s[2:3] offset:16
	s_wait_xcnt 0x0
	v_cmpx_eq_u32_e32 0, v2
	s_cbranch_execz .LBB6_2522
; %bb.2521:
	s_bcnt1_i32_b32 s7, s7
	s_delay_alu instid0(SALU_CYCLE_1)
	v_mov_b32_e32 v2, s7
	global_wb scope:SCOPE_SYS
	s_wait_loadcnt 0x0
	s_wait_storecnt 0x0
	global_atomic_add_u64 v[0:1], v[2:3], off offset:8 scope:SCOPE_SYS
.LBB6_2522:
	s_wait_xcnt 0x0
	s_or_b32 exec_lo, exec_lo, s6
	s_wait_loadcnt 0x0
	global_load_b64 v[2:3], v[0:1], off offset:16
	s_wait_loadcnt 0x0
	v_cmp_eq_u64_e32 vcc_lo, 0, v[2:3]
	s_cbranch_vccnz .LBB6_2524
; %bb.2523:
	global_load_b32 v0, v[0:1], off offset:24
	s_wait_xcnt 0x0
	v_mov_b32_e32 v1, 0
	s_wait_loadcnt 0x0
	v_readfirstlane_b32 s6, v0
	global_wb scope:SCOPE_SYS
	s_wait_storecnt 0x0
	global_store_b64 v[2:3], v[0:1], off scope:SCOPE_SYS
	s_and_b32 m0, s6, 0xffffff
	s_sendmsg sendmsg(MSG_INTERRUPT)
.LBB6_2524:
	s_wait_xcnt 0x0
	s_or_b32 exec_lo, exec_lo, s1
	s_branch .LBB6_2528
.LBB6_2525:                             ;   in Loop: Header=BB6_2528 Depth=1
	s_wait_xcnt 0x0
	s_or_b32 exec_lo, exec_lo, s1
	s_delay_alu instid0(VALU_DEP_1)
	v_readfirstlane_b32 s1, v0
	s_cmp_eq_u32 s1, 0
	s_cbranch_scc1 .LBB6_2527
; %bb.2526:                             ;   in Loop: Header=BB6_2528 Depth=1
	s_sleep 1
	s_cbranch_execnz .LBB6_2528
	s_branch .LBB6_2530
.LBB6_2527:
	s_branch .LBB6_2530
.LBB6_2528:                             ; =>This Inner Loop Header: Depth=1
	v_mov_b32_e32 v0, 1
	s_and_saveexec_b32 s1, s0
	s_cbranch_execz .LBB6_2525
; %bb.2529:                             ;   in Loop: Header=BB6_2528 Depth=1
	global_load_b32 v0, v[10:11], off offset:20 scope:SCOPE_SYS
	s_wait_loadcnt 0x0
	global_inv scope:SCOPE_SYS
	v_and_b32_e32 v0, 1, v0
	s_branch .LBB6_2525
.LBB6_2530:
	s_and_saveexec_b32 s6, s0
	s_cbranch_execz .LBB6_2534
; %bb.2531:
	v_mov_b32_e32 v6, 0
	s_clause 0x2
	global_load_b64 v[0:1], v6, s[2:3] offset:40
	global_load_b64 v[10:11], v6, s[2:3] offset:24 scope:SCOPE_SYS
	global_load_b64 v[2:3], v6, s[2:3]
	s_wait_loadcnt 0x2
	v_readfirstlane_b32 s8, v0
	v_readfirstlane_b32 s9, v1
	s_add_nc_u64 s[0:1], s[8:9], 1
	s_delay_alu instid0(SALU_CYCLE_1) | instskip(NEXT) | instid1(SALU_CYCLE_1)
	s_add_nc_u64 s[4:5], s[0:1], s[4:5]
	s_cmp_eq_u64 s[4:5], 0
	s_cselect_b32 s1, s1, s5
	s_cselect_b32 s0, s0, s4
	v_mov_b32_e32 v9, s1
	s_and_b64 s[4:5], s[0:1], s[8:9]
	v_mov_b32_e32 v8, s0
	s_mul_u64 s[4:5], s[4:5], 24
	s_wait_loadcnt 0x0
	v_add_nc_u64_e32 v[4:5], s[4:5], v[2:3]
	global_store_b64 v[4:5], v[10:11], off
	global_wb scope:SCOPE_SYS
	s_wait_storecnt 0x0
	s_wait_xcnt 0x0
	global_atomic_cmpswap_b64 v[2:3], v6, v[8:11], s[2:3] offset:24 th:TH_ATOMIC_RETURN scope:SCOPE_SYS
	s_wait_loadcnt 0x0
	v_cmp_ne_u64_e32 vcc_lo, v[2:3], v[10:11]
	s_and_b32 exec_lo, exec_lo, vcc_lo
	s_cbranch_execz .LBB6_2534
; %bb.2532:
	s_mov_b32 s4, 0
.LBB6_2533:                             ; =>This Inner Loop Header: Depth=1
	v_dual_mov_b32 v0, s0 :: v_dual_mov_b32 v1, s1
	s_sleep 1
	global_store_b64 v[4:5], v[2:3], off
	global_wb scope:SCOPE_SYS
	s_wait_storecnt 0x0
	s_wait_xcnt 0x0
	global_atomic_cmpswap_b64 v[0:1], v6, v[0:3], s[2:3] offset:24 th:TH_ATOMIC_RETURN scope:SCOPE_SYS
	s_wait_loadcnt 0x0
	v_cmp_eq_u64_e32 vcc_lo, v[0:1], v[2:3]
	v_mov_b64_e32 v[2:3], v[0:1]
	s_or_b32 s4, vcc_lo, s4
	s_delay_alu instid0(SALU_CYCLE_1)
	s_and_not1_b32 exec_lo, exec_lo, s4
	s_cbranch_execnz .LBB6_2533
.LBB6_2534:
	s_or_b32 exec_lo, exec_lo, s6
.LBB6_2535:
	s_get_pc_i64 s[0:1]
	s_add_nc_u64 s[0:1], s[0:1], .str.29@rel64+4
	s_get_pc_i64 s[2:3]
	s_add_nc_u64 s[2:3], s[2:3], .str.19@rel64+4
	s_get_pc_i64 s[4:5]
	s_add_nc_u64 s[4:5], s[4:5], __PRETTY_FUNCTION__._ZN7VecsMemIjLi8192EE5fetchEi@rel64+4
	v_dual_mov_b32 v0, s0 :: v_dual_mov_b32 v1, s1
	s_wait_loadcnt 0x0
	v_dual_mov_b32 v2, s2 :: v_dual_mov_b32 v3, s3
	v_dual_mov_b32 v4, 12 :: v_dual_mov_b32 v5, s4
	v_mov_b32_e32 v6, s5
	s_get_pc_i64 s[6:7]
	s_add_nc_u64 s[6:7], s[6:7], __assert_fail@rel64+4
	s_mov_b64 s[8:9], s[52:53]
	s_swap_pc_i64 s[30:31], s[6:7]
	s_or_b32 s23, s23, exec_lo
.LBB6_2536:
	s_or_b32 exec_lo, exec_lo, s17
	s_delay_alu instid0(SALU_CYCLE_1) | instskip(SKIP_1) | instid1(SALU_CYCLE_1)
	s_and_not1_b32 s0, s19, exec_lo
	s_and_b32 s1, s23, exec_lo
	s_or_b32 s19, s0, s1
.LBB6_2537:
	s_or_b32 exec_lo, exec_lo, s27
	s_delay_alu instid0(SALU_CYCLE_1) | instskip(SKIP_1) | instid1(SALU_CYCLE_1)
	s_and_not1_b32 s0, s18, exec_lo
	s_and_b32 s1, s19, exec_lo
	s_or_b32 s18, s0, s1
.LBB6_2538:
	s_or_b32 exec_lo, exec_lo, s26
	s_and_saveexec_b32 s0, s22
	s_delay_alu instid0(SALU_CYCLE_1)
	s_xor_b32 s17, exec_lo, s0
	s_cbranch_execz .LBB6_2674
; %bb.2539:
	s_load_b64 s[2:3], s[52:53], 0x50
	v_mbcnt_lo_u32_b32 v32, -1, 0
	v_mov_b64_e32 v[2:3], 0
	s_delay_alu instid0(VALU_DEP_2) | instskip(NEXT) | instid1(VALU_DEP_1)
	v_readfirstlane_b32 s0, v32
	v_cmp_eq_u32_e64 s0, s0, v32
	s_and_saveexec_b32 s1, s0
	s_cbranch_execz .LBB6_2545
; %bb.2540:
	v_mov_b32_e32 v0, 0
	s_mov_b32 s4, exec_lo
	s_wait_kmcnt 0x0
	global_load_b64 v[4:5], v0, s[2:3] offset:24 scope:SCOPE_SYS
	s_wait_loadcnt 0x0
	global_inv scope:SCOPE_SYS
	s_clause 0x1
	global_load_b64 v[2:3], v0, s[2:3] offset:40
	global_load_b64 v[6:7], v0, s[2:3]
	s_wait_loadcnt 0x1
	v_and_b32_e32 v2, v2, v4
	v_and_b32_e32 v3, v3, v5
	s_delay_alu instid0(VALU_DEP_1) | instskip(SKIP_1) | instid1(VALU_DEP_1)
	v_mul_u64_e32 v[2:3], 24, v[2:3]
	s_wait_loadcnt 0x0
	v_add_nc_u64_e32 v[2:3], v[6:7], v[2:3]
	global_load_b64 v[2:3], v[2:3], off scope:SCOPE_SYS
	s_wait_xcnt 0x0
	s_wait_loadcnt 0x0
	global_atomic_cmpswap_b64 v[2:3], v0, v[2:5], s[2:3] offset:24 th:TH_ATOMIC_RETURN scope:SCOPE_SYS
	s_wait_loadcnt 0x0
	global_inv scope:SCOPE_SYS
	s_wait_xcnt 0x0
	v_cmpx_ne_u64_e64 v[2:3], v[4:5]
	s_cbranch_execz .LBB6_2544
; %bb.2541:
	s_mov_b32 s5, 0
.LBB6_2542:                             ; =>This Inner Loop Header: Depth=1
	s_sleep 1
	s_clause 0x1
	global_load_b64 v[6:7], v0, s[2:3] offset:40
	global_load_b64 v[8:9], v0, s[2:3]
	v_mov_b64_e32 v[4:5], v[2:3]
	s_wait_loadcnt 0x1
	s_delay_alu instid0(VALU_DEP_1) | instskip(SKIP_1) | instid1(VALU_DEP_1)
	v_and_b32_e32 v1, v6, v4
	s_wait_loadcnt 0x0
	v_mad_nc_u64_u32 v[2:3], v1, 24, v[8:9]
	s_delay_alu instid0(VALU_DEP_3) | instskip(NEXT) | instid1(VALU_DEP_1)
	v_and_b32_e32 v1, v7, v5
	v_mad_u32 v3, v1, 24, v3
	global_load_b64 v[2:3], v[2:3], off scope:SCOPE_SYS
	s_wait_xcnt 0x0
	s_wait_loadcnt 0x0
	global_atomic_cmpswap_b64 v[2:3], v0, v[2:5], s[2:3] offset:24 th:TH_ATOMIC_RETURN scope:SCOPE_SYS
	s_wait_loadcnt 0x0
	global_inv scope:SCOPE_SYS
	v_cmp_eq_u64_e32 vcc_lo, v[2:3], v[4:5]
	s_or_b32 s5, vcc_lo, s5
	s_wait_xcnt 0x0
	s_and_not1_b32 exec_lo, exec_lo, s5
	s_cbranch_execnz .LBB6_2542
; %bb.2543:
	s_or_b32 exec_lo, exec_lo, s5
.LBB6_2544:
	s_delay_alu instid0(SALU_CYCLE_1)
	s_or_b32 exec_lo, exec_lo, s4
.LBB6_2545:
	s_delay_alu instid0(SALU_CYCLE_1)
	s_or_b32 exec_lo, exec_lo, s1
	v_readfirstlane_b32 s4, v2
	v_mov_b32_e32 v1, 0
	v_readfirstlane_b32 s5, v3
	s_mov_b32 s1, exec_lo
	s_wait_kmcnt 0x0
	s_clause 0x1
	global_load_b64 v[8:9], v1, s[2:3] offset:40
	global_load_b128 v[4:7], v1, s[2:3]
	s_wait_loadcnt 0x1
	v_and_b32_e32 v10, s4, v8
	v_and_b32_e32 v11, s5, v9
	s_delay_alu instid0(VALU_DEP_1) | instskip(SKIP_1) | instid1(VALU_DEP_1)
	v_mul_u64_e32 v[2:3], 24, v[10:11]
	s_wait_loadcnt 0x0
	v_add_nc_u64_e32 v[8:9], v[4:5], v[2:3]
	s_wait_xcnt 0x0
	s_and_saveexec_b32 s6, s0
	s_cbranch_execz .LBB6_2547
; %bb.2546:
	v_mov_b64_e32 v[2:3], 0x100000002
	v_mov_b32_e32 v0, s1
	global_store_b128 v[8:9], v[0:3], off offset:8
.LBB6_2547:
	s_wait_xcnt 0x0
	s_or_b32 exec_lo, exec_lo, s6
	v_lshlrev_b64_e32 v[2:3], 12, v[10:11]
	s_mov_b32 s8, 0
	v_dual_lshlrev_b32 v0, 6, v32 :: v_dual_mov_b32 v10, 33
	s_mov_b32 s10, s8
	s_mov_b32 s11, s8
	;; [unrolled: 1-line block ×3, first 2 shown]
	s_delay_alu instid0(VALU_DEP_2)
	v_add_nc_u64_e32 v[6:7], v[6:7], v[2:3]
	v_mov_b64_e32 v[16:17], s[10:11]
	v_mov_b64_e32 v[14:15], s[8:9]
	s_wait_dscnt 0x1
	v_dual_mov_b32 v11, v1 :: v_dual_mov_b32 v12, v1
	v_mov_b32_e32 v13, v1
	v_readfirstlane_b32 s6, v6
	v_readfirstlane_b32 s7, v7
	s_clause 0x3
	global_store_b128 v0, v[10:13], s[6:7]
	global_store_b128 v0, v[14:17], s[6:7] offset:16
	global_store_b128 v0, v[14:17], s[6:7] offset:32
	;; [unrolled: 1-line block ×3, first 2 shown]
	s_wait_xcnt 0x0
	s_and_saveexec_b32 s1, s0
	s_cbranch_execz .LBB6_2555
; %bb.2548:
	v_dual_mov_b32 v12, 0 :: v_dual_mov_b32 v15, s5
	s_mov_b32 s6, exec_lo
	s_clause 0x1
	global_load_b64 v[16:17], v12, s[2:3] offset:32 scope:SCOPE_SYS
	global_load_b64 v[2:3], v12, s[2:3] offset:40
	s_wait_loadcnt 0x0
	v_dual_mov_b32 v14, s4 :: v_dual_bitop2_b32 v3, s5, v3 bitop3:0x40
	v_and_b32_e32 v2, s4, v2
	s_delay_alu instid0(VALU_DEP_1) | instskip(NEXT) | instid1(VALU_DEP_1)
	v_mul_u64_e32 v[2:3], 24, v[2:3]
	v_add_nc_u64_e32 v[10:11], v[4:5], v[2:3]
	global_store_b64 v[10:11], v[16:17], off
	global_wb scope:SCOPE_SYS
	s_wait_storecnt 0x0
	s_wait_xcnt 0x0
	global_atomic_cmpswap_b64 v[4:5], v12, v[14:17], s[2:3] offset:32 th:TH_ATOMIC_RETURN scope:SCOPE_SYS
	s_wait_loadcnt 0x0
	v_cmpx_ne_u64_e64 v[4:5], v[16:17]
	s_cbranch_execz .LBB6_2551
; %bb.2549:
	s_mov_b32 s7, 0
.LBB6_2550:                             ; =>This Inner Loop Header: Depth=1
	v_dual_mov_b32 v2, s4 :: v_dual_mov_b32 v3, s5
	s_sleep 1
	global_store_b64 v[10:11], v[4:5], off
	global_wb scope:SCOPE_SYS
	s_wait_storecnt 0x0
	s_wait_xcnt 0x0
	global_atomic_cmpswap_b64 v[2:3], v12, v[2:5], s[2:3] offset:32 th:TH_ATOMIC_RETURN scope:SCOPE_SYS
	s_wait_loadcnt 0x0
	v_cmp_eq_u64_e32 vcc_lo, v[2:3], v[4:5]
	v_mov_b64_e32 v[4:5], v[2:3]
	s_or_b32 s7, vcc_lo, s7
	s_delay_alu instid0(SALU_CYCLE_1)
	s_and_not1_b32 exec_lo, exec_lo, s7
	s_cbranch_execnz .LBB6_2550
.LBB6_2551:
	s_or_b32 exec_lo, exec_lo, s6
	v_mov_b32_e32 v5, 0
	s_mov_b32 s7, exec_lo
	s_mov_b32 s6, exec_lo
	v_mbcnt_lo_u32_b32 v4, s7, 0
	global_load_b64 v[2:3], v5, s[2:3] offset:16
	s_wait_xcnt 0x0
	v_cmpx_eq_u32_e32 0, v4
	s_cbranch_execz .LBB6_2553
; %bb.2552:
	s_bcnt1_i32_b32 s7, s7
	s_delay_alu instid0(SALU_CYCLE_1)
	v_mov_b32_e32 v4, s7
	global_wb scope:SCOPE_SYS
	s_wait_loadcnt 0x0
	s_wait_storecnt 0x0
	global_atomic_add_u64 v[2:3], v[4:5], off offset:8 scope:SCOPE_SYS
.LBB6_2553:
	s_wait_xcnt 0x0
	s_or_b32 exec_lo, exec_lo, s6
	s_wait_loadcnt 0x0
	global_load_b64 v[4:5], v[2:3], off offset:16
	s_wait_loadcnt 0x0
	v_cmp_eq_u64_e32 vcc_lo, 0, v[4:5]
	s_cbranch_vccnz .LBB6_2555
; %bb.2554:
	global_load_b32 v2, v[2:3], off offset:24
	s_wait_xcnt 0x0
	v_mov_b32_e32 v3, 0
	s_wait_loadcnt 0x0
	v_readfirstlane_b32 s6, v2
	global_wb scope:SCOPE_SYS
	s_wait_storecnt 0x0
	global_store_b64 v[4:5], v[2:3], off scope:SCOPE_SYS
	s_and_b32 m0, s6, 0xffffff
	s_sendmsg sendmsg(MSG_INTERRUPT)
.LBB6_2555:
	s_wait_xcnt 0x0
	s_or_b32 exec_lo, exec_lo, s1
	v_add_nc_u64_e32 v[2:3], v[6:7], v[0:1]
	s_branch .LBB6_2559
.LBB6_2556:                             ;   in Loop: Header=BB6_2559 Depth=1
	s_wait_xcnt 0x0
	s_or_b32 exec_lo, exec_lo, s1
	s_delay_alu instid0(VALU_DEP_1)
	v_readfirstlane_b32 s1, v1
	s_cmp_eq_u32 s1, 0
	s_cbranch_scc1 .LBB6_2558
; %bb.2557:                             ;   in Loop: Header=BB6_2559 Depth=1
	s_sleep 1
	s_cbranch_execnz .LBB6_2559
	s_branch .LBB6_2561
.LBB6_2558:
	s_branch .LBB6_2561
.LBB6_2559:                             ; =>This Inner Loop Header: Depth=1
	v_mov_b32_e32 v1, 1
	s_and_saveexec_b32 s1, s0
	s_cbranch_execz .LBB6_2556
; %bb.2560:                             ;   in Loop: Header=BB6_2559 Depth=1
	global_load_b32 v1, v[8:9], off offset:20 scope:SCOPE_SYS
	s_wait_loadcnt 0x0
	global_inv scope:SCOPE_SYS
	v_and_b32_e32 v1, 1, v1
	s_branch .LBB6_2556
.LBB6_2561:
	global_load_b64 v[2:3], v[2:3], off
	s_wait_xcnt 0x0
	s_and_saveexec_b32 s6, s0
	s_cbranch_execz .LBB6_2565
; %bb.2562:
	v_mov_b32_e32 v1, 0
	s_clause 0x2
	global_load_b64 v[4:5], v1, s[2:3] offset:40
	global_load_b64 v[12:13], v1, s[2:3] offset:24 scope:SCOPE_SYS
	global_load_b64 v[6:7], v1, s[2:3]
	s_wait_loadcnt 0x2
	v_readfirstlane_b32 s8, v4
	v_readfirstlane_b32 s9, v5
	s_add_nc_u64 s[0:1], s[8:9], 1
	s_delay_alu instid0(SALU_CYCLE_1) | instskip(NEXT) | instid1(SALU_CYCLE_1)
	s_add_nc_u64 s[4:5], s[0:1], s[4:5]
	s_cmp_eq_u64 s[4:5], 0
	s_cselect_b32 s1, s1, s5
	s_cselect_b32 s0, s0, s4
	v_mov_b32_e32 v11, s1
	s_and_b64 s[4:5], s[0:1], s[8:9]
	v_mov_b32_e32 v10, s0
	s_mul_u64 s[4:5], s[4:5], 24
	s_wait_loadcnt 0x0
	v_add_nc_u64_e32 v[8:9], s[4:5], v[6:7]
	global_store_b64 v[8:9], v[12:13], off
	global_wb scope:SCOPE_SYS
	s_wait_storecnt 0x0
	s_wait_xcnt 0x0
	global_atomic_cmpswap_b64 v[6:7], v1, v[10:13], s[2:3] offset:24 th:TH_ATOMIC_RETURN scope:SCOPE_SYS
	s_wait_loadcnt 0x0
	v_cmp_ne_u64_e32 vcc_lo, v[6:7], v[12:13]
	s_and_b32 exec_lo, exec_lo, vcc_lo
	s_cbranch_execz .LBB6_2565
; %bb.2563:
	s_mov_b32 s4, 0
.LBB6_2564:                             ; =>This Inner Loop Header: Depth=1
	v_dual_mov_b32 v4, s0 :: v_dual_mov_b32 v5, s1
	s_sleep 1
	global_store_b64 v[8:9], v[6:7], off
	global_wb scope:SCOPE_SYS
	s_wait_storecnt 0x0
	s_wait_xcnt 0x0
	global_atomic_cmpswap_b64 v[4:5], v1, v[4:7], s[2:3] offset:24 th:TH_ATOMIC_RETURN scope:SCOPE_SYS
	s_wait_loadcnt 0x0
	v_cmp_eq_u64_e32 vcc_lo, v[4:5], v[6:7]
	v_mov_b64_e32 v[6:7], v[4:5]
	s_or_b32 s4, vcc_lo, s4
	s_delay_alu instid0(SALU_CYCLE_1)
	s_and_not1_b32 exec_lo, exec_lo, s4
	s_cbranch_execnz .LBB6_2564
.LBB6_2565:
	s_or_b32 exec_lo, exec_lo, s6
	s_get_pc_i64 s[4:5]
	s_add_nc_u64 s[4:5], s[4:5], .str.28@rel64+4
	s_delay_alu instid0(SALU_CYCLE_1)
	s_cmp_lg_u64 s[4:5], 0
	s_cbranch_scc0 .LBB6_2644
; %bb.2566:
	v_mov_b64_e32 v[6:7], 0x100000002
	s_wait_loadcnt 0x0
	v_dual_mov_b32 v9, v3 :: v_dual_bitop2_b32 v8, -3, v2 bitop3:0x40
	v_mov_b32_e32 v5, 0
	s_mov_b64 s[6:7], 35
	s_branch .LBB6_2568
.LBB6_2567:                             ;   in Loop: Header=BB6_2568 Depth=1
	s_or_b32 exec_lo, exec_lo, s12
	s_sub_nc_u64 s[6:7], s[6:7], s[8:9]
	s_add_nc_u64 s[4:5], s[4:5], s[8:9]
	s_cmp_lg_u64 s[6:7], 0
	s_cbranch_scc0 .LBB6_2643
.LBB6_2568:                             ; =>This Loop Header: Depth=1
                                        ;     Child Loop BB6_2571 Depth 2
                                        ;     Child Loop BB6_2578 Depth 2
	;; [unrolled: 1-line block ×11, first 2 shown]
	s_wait_loadcnt 0x0
	v_min_u64 v[10:11], s[6:7], 56
	v_cmp_gt_u64_e64 s0, s[6:7], 7
	s_and_b32 vcc_lo, exec_lo, s0
	v_readfirstlane_b32 s8, v10
	v_readfirstlane_b32 s9, v11
	s_cbranch_vccnz .LBB6_2573
; %bb.2569:                             ;   in Loop: Header=BB6_2568 Depth=1
	v_mov_b64_e32 v[10:11], 0
	s_cmp_eq_u64 s[6:7], 0
	s_cbranch_scc1 .LBB6_2572
; %bb.2570:                             ;   in Loop: Header=BB6_2568 Depth=1
	s_mov_b64 s[0:1], 0
	s_mov_b64 s[10:11], 0
.LBB6_2571:                             ;   Parent Loop BB6_2568 Depth=1
                                        ; =>  This Inner Loop Header: Depth=2
	s_wait_xcnt 0x0
	s_add_nc_u64 s[12:13], s[4:5], s[10:11]
	s_add_nc_u64 s[10:11], s[10:11], 1
	global_load_u8 v1, v5, s[12:13]
	s_cmp_lg_u32 s8, s10
	s_wait_loadcnt 0x0
	v_and_b32_e32 v4, 0xffff, v1
	s_delay_alu instid0(VALU_DEP_1) | instskip(SKIP_1) | instid1(VALU_DEP_1)
	v_lshlrev_b64_e32 v[12:13], s0, v[4:5]
	s_add_nc_u64 s[0:1], s[0:1], 8
	v_or_b32_e32 v10, v12, v10
	s_delay_alu instid0(VALU_DEP_2)
	v_or_b32_e32 v11, v13, v11
	s_cbranch_scc1 .LBB6_2571
.LBB6_2572:                             ;   in Loop: Header=BB6_2568 Depth=1
	s_mov_b64 s[10:11], s[4:5]
	s_mov_b32 s14, 0
	s_cbranch_execz .LBB6_2574
	s_branch .LBB6_2575
.LBB6_2573:                             ;   in Loop: Header=BB6_2568 Depth=1
	s_add_nc_u64 s[10:11], s[4:5], 8
	s_mov_b32 s14, 0
.LBB6_2574:                             ;   in Loop: Header=BB6_2568 Depth=1
	global_load_b64 v[10:11], v5, s[4:5]
	s_add_co_i32 s14, s8, -8
.LBB6_2575:                             ;   in Loop: Header=BB6_2568 Depth=1
	s_delay_alu instid0(SALU_CYCLE_1)
	s_cmp_gt_u32 s14, 7
	s_cbranch_scc1 .LBB6_2580
; %bb.2576:                             ;   in Loop: Header=BB6_2568 Depth=1
	v_mov_b64_e32 v[12:13], 0
	s_cmp_eq_u32 s14, 0
	s_cbranch_scc1 .LBB6_2579
; %bb.2577:                             ;   in Loop: Header=BB6_2568 Depth=1
	s_mov_b64 s[0:1], 0
	s_wait_xcnt 0x0
	s_mov_b64 s[12:13], 0
.LBB6_2578:                             ;   Parent Loop BB6_2568 Depth=1
                                        ; =>  This Inner Loop Header: Depth=2
	s_wait_xcnt 0x0
	s_add_nc_u64 s[22:23], s[10:11], s[12:13]
	s_add_nc_u64 s[12:13], s[12:13], 1
	global_load_u8 v1, v5, s[22:23]
	s_cmp_lg_u32 s14, s12
	s_wait_loadcnt 0x0
	v_and_b32_e32 v4, 0xffff, v1
	s_delay_alu instid0(VALU_DEP_1) | instskip(SKIP_1) | instid1(VALU_DEP_1)
	v_lshlrev_b64_e32 v[14:15], s0, v[4:5]
	s_add_nc_u64 s[0:1], s[0:1], 8
	v_or_b32_e32 v12, v14, v12
	s_delay_alu instid0(VALU_DEP_2)
	v_or_b32_e32 v13, v15, v13
	s_cbranch_scc1 .LBB6_2578
.LBB6_2579:                             ;   in Loop: Header=BB6_2568 Depth=1
	s_wait_xcnt 0x0
	s_mov_b64 s[0:1], s[10:11]
	s_mov_b32 s15, 0
	s_cbranch_execz .LBB6_2581
	s_branch .LBB6_2582
.LBB6_2580:                             ;   in Loop: Header=BB6_2568 Depth=1
	s_add_nc_u64 s[0:1], s[10:11], 8
	s_wait_xcnt 0x0
                                        ; implicit-def: $vgpr12_vgpr13
	s_mov_b32 s15, 0
.LBB6_2581:                             ;   in Loop: Header=BB6_2568 Depth=1
	global_load_b64 v[12:13], v5, s[10:11]
	s_add_co_i32 s15, s14, -8
.LBB6_2582:                             ;   in Loop: Header=BB6_2568 Depth=1
	s_delay_alu instid0(SALU_CYCLE_1)
	s_cmp_gt_u32 s15, 7
	s_cbranch_scc1 .LBB6_2587
; %bb.2583:                             ;   in Loop: Header=BB6_2568 Depth=1
	v_mov_b64_e32 v[14:15], 0
	s_cmp_eq_u32 s15, 0
	s_cbranch_scc1 .LBB6_2586
; %bb.2584:                             ;   in Loop: Header=BB6_2568 Depth=1
	s_wait_xcnt 0x0
	s_mov_b64 s[10:11], 0
	s_mov_b64 s[12:13], 0
.LBB6_2585:                             ;   Parent Loop BB6_2568 Depth=1
                                        ; =>  This Inner Loop Header: Depth=2
	s_wait_xcnt 0x0
	s_add_nc_u64 s[22:23], s[0:1], s[12:13]
	s_add_nc_u64 s[12:13], s[12:13], 1
	global_load_u8 v1, v5, s[22:23]
	s_cmp_lg_u32 s15, s12
	s_wait_loadcnt 0x0
	v_and_b32_e32 v4, 0xffff, v1
	s_delay_alu instid0(VALU_DEP_1) | instskip(SKIP_1) | instid1(VALU_DEP_1)
	v_lshlrev_b64_e32 v[16:17], s10, v[4:5]
	s_add_nc_u64 s[10:11], s[10:11], 8
	v_or_b32_e32 v14, v16, v14
	s_delay_alu instid0(VALU_DEP_2)
	v_or_b32_e32 v15, v17, v15
	s_cbranch_scc1 .LBB6_2585
.LBB6_2586:                             ;   in Loop: Header=BB6_2568 Depth=1
	s_wait_xcnt 0x0
	s_mov_b64 s[10:11], s[0:1]
	s_mov_b32 s14, 0
	s_cbranch_execz .LBB6_2588
	s_branch .LBB6_2589
.LBB6_2587:                             ;   in Loop: Header=BB6_2568 Depth=1
	s_wait_xcnt 0x0
	s_add_nc_u64 s[10:11], s[0:1], 8
	s_mov_b32 s14, 0
.LBB6_2588:                             ;   in Loop: Header=BB6_2568 Depth=1
	global_load_b64 v[14:15], v5, s[0:1]
	s_add_co_i32 s14, s15, -8
.LBB6_2589:                             ;   in Loop: Header=BB6_2568 Depth=1
	s_delay_alu instid0(SALU_CYCLE_1)
	s_cmp_gt_u32 s14, 7
	s_cbranch_scc1 .LBB6_2594
; %bb.2590:                             ;   in Loop: Header=BB6_2568 Depth=1
	v_mov_b64_e32 v[16:17], 0
	s_cmp_eq_u32 s14, 0
	s_cbranch_scc1 .LBB6_2593
; %bb.2591:                             ;   in Loop: Header=BB6_2568 Depth=1
	s_wait_xcnt 0x0
	s_mov_b64 s[0:1], 0
	s_mov_b64 s[12:13], 0
.LBB6_2592:                             ;   Parent Loop BB6_2568 Depth=1
                                        ; =>  This Inner Loop Header: Depth=2
	s_wait_xcnt 0x0
	s_add_nc_u64 s[22:23], s[10:11], s[12:13]
	s_add_nc_u64 s[12:13], s[12:13], 1
	global_load_u8 v1, v5, s[22:23]
	s_cmp_lg_u32 s14, s12
	s_wait_loadcnt 0x0
	v_and_b32_e32 v4, 0xffff, v1
	s_delay_alu instid0(VALU_DEP_1) | instskip(SKIP_1) | instid1(VALU_DEP_1)
	v_lshlrev_b64_e32 v[18:19], s0, v[4:5]
	s_add_nc_u64 s[0:1], s[0:1], 8
	v_or_b32_e32 v16, v18, v16
	s_delay_alu instid0(VALU_DEP_2)
	v_or_b32_e32 v17, v19, v17
	s_cbranch_scc1 .LBB6_2592
.LBB6_2593:                             ;   in Loop: Header=BB6_2568 Depth=1
	s_wait_xcnt 0x0
	s_mov_b64 s[0:1], s[10:11]
	s_mov_b32 s15, 0
	s_cbranch_execz .LBB6_2595
	s_branch .LBB6_2596
.LBB6_2594:                             ;   in Loop: Header=BB6_2568 Depth=1
	s_wait_xcnt 0x0
	s_add_nc_u64 s[0:1], s[10:11], 8
                                        ; implicit-def: $vgpr16_vgpr17
	s_mov_b32 s15, 0
.LBB6_2595:                             ;   in Loop: Header=BB6_2568 Depth=1
	global_load_b64 v[16:17], v5, s[10:11]
	s_add_co_i32 s15, s14, -8
.LBB6_2596:                             ;   in Loop: Header=BB6_2568 Depth=1
	s_delay_alu instid0(SALU_CYCLE_1)
	s_cmp_gt_u32 s15, 7
	s_cbranch_scc1 .LBB6_2601
; %bb.2597:                             ;   in Loop: Header=BB6_2568 Depth=1
	v_mov_b64_e32 v[18:19], 0
	s_cmp_eq_u32 s15, 0
	s_cbranch_scc1 .LBB6_2600
; %bb.2598:                             ;   in Loop: Header=BB6_2568 Depth=1
	s_wait_xcnt 0x0
	s_mov_b64 s[10:11], 0
	s_mov_b64 s[12:13], 0
.LBB6_2599:                             ;   Parent Loop BB6_2568 Depth=1
                                        ; =>  This Inner Loop Header: Depth=2
	s_wait_xcnt 0x0
	s_add_nc_u64 s[22:23], s[0:1], s[12:13]
	s_add_nc_u64 s[12:13], s[12:13], 1
	global_load_u8 v1, v5, s[22:23]
	s_cmp_lg_u32 s15, s12
	s_wait_loadcnt 0x0
	v_and_b32_e32 v4, 0xffff, v1
	s_delay_alu instid0(VALU_DEP_1) | instskip(SKIP_1) | instid1(VALU_DEP_1)
	v_lshlrev_b64_e32 v[20:21], s10, v[4:5]
	s_add_nc_u64 s[10:11], s[10:11], 8
	v_or_b32_e32 v18, v20, v18
	s_delay_alu instid0(VALU_DEP_2)
	v_or_b32_e32 v19, v21, v19
	s_cbranch_scc1 .LBB6_2599
.LBB6_2600:                             ;   in Loop: Header=BB6_2568 Depth=1
	s_wait_xcnt 0x0
	s_mov_b64 s[10:11], s[0:1]
	s_mov_b32 s14, 0
	s_cbranch_execz .LBB6_2602
	s_branch .LBB6_2603
.LBB6_2601:                             ;   in Loop: Header=BB6_2568 Depth=1
	s_wait_xcnt 0x0
	s_add_nc_u64 s[10:11], s[0:1], 8
	s_mov_b32 s14, 0
.LBB6_2602:                             ;   in Loop: Header=BB6_2568 Depth=1
	global_load_b64 v[18:19], v5, s[0:1]
	s_add_co_i32 s14, s15, -8
.LBB6_2603:                             ;   in Loop: Header=BB6_2568 Depth=1
	s_delay_alu instid0(SALU_CYCLE_1)
	s_cmp_gt_u32 s14, 7
	s_cbranch_scc1 .LBB6_2608
; %bb.2604:                             ;   in Loop: Header=BB6_2568 Depth=1
	v_mov_b64_e32 v[20:21], 0
	s_cmp_eq_u32 s14, 0
	s_cbranch_scc1 .LBB6_2607
; %bb.2605:                             ;   in Loop: Header=BB6_2568 Depth=1
	s_wait_xcnt 0x0
	s_mov_b64 s[0:1], 0
	s_mov_b64 s[12:13], 0
.LBB6_2606:                             ;   Parent Loop BB6_2568 Depth=1
                                        ; =>  This Inner Loop Header: Depth=2
	s_wait_xcnt 0x0
	s_add_nc_u64 s[22:23], s[10:11], s[12:13]
	s_add_nc_u64 s[12:13], s[12:13], 1
	global_load_u8 v1, v5, s[22:23]
	s_cmp_lg_u32 s14, s12
	s_wait_loadcnt 0x0
	v_and_b32_e32 v4, 0xffff, v1
	s_delay_alu instid0(VALU_DEP_1) | instskip(SKIP_1) | instid1(VALU_DEP_1)
	v_lshlrev_b64_e32 v[22:23], s0, v[4:5]
	s_add_nc_u64 s[0:1], s[0:1], 8
	v_or_b32_e32 v20, v22, v20
	s_delay_alu instid0(VALU_DEP_2)
	v_or_b32_e32 v21, v23, v21
	s_cbranch_scc1 .LBB6_2606
.LBB6_2607:                             ;   in Loop: Header=BB6_2568 Depth=1
	s_wait_xcnt 0x0
	s_mov_b64 s[0:1], s[10:11]
	s_mov_b32 s15, 0
	s_cbranch_execz .LBB6_2609
	s_branch .LBB6_2610
.LBB6_2608:                             ;   in Loop: Header=BB6_2568 Depth=1
	s_wait_xcnt 0x0
	s_add_nc_u64 s[0:1], s[10:11], 8
                                        ; implicit-def: $vgpr20_vgpr21
	s_mov_b32 s15, 0
.LBB6_2609:                             ;   in Loop: Header=BB6_2568 Depth=1
	global_load_b64 v[20:21], v5, s[10:11]
	s_add_co_i32 s15, s14, -8
.LBB6_2610:                             ;   in Loop: Header=BB6_2568 Depth=1
	s_delay_alu instid0(SALU_CYCLE_1)
	s_cmp_gt_u32 s15, 7
	s_cbranch_scc1 .LBB6_2615
; %bb.2611:                             ;   in Loop: Header=BB6_2568 Depth=1
	v_mov_b64_e32 v[22:23], 0
	s_cmp_eq_u32 s15, 0
	s_cbranch_scc1 .LBB6_2614
; %bb.2612:                             ;   in Loop: Header=BB6_2568 Depth=1
	s_wait_xcnt 0x0
	s_mov_b64 s[10:11], 0
	s_mov_b64 s[12:13], s[0:1]
.LBB6_2613:                             ;   Parent Loop BB6_2568 Depth=1
                                        ; =>  This Inner Loop Header: Depth=2
	global_load_u8 v1, v5, s[12:13]
	s_add_co_i32 s15, s15, -1
	s_wait_xcnt 0x0
	s_add_nc_u64 s[12:13], s[12:13], 1
	s_cmp_lg_u32 s15, 0
	s_wait_loadcnt 0x0
	v_and_b32_e32 v4, 0xffff, v1
	s_delay_alu instid0(VALU_DEP_1) | instskip(SKIP_1) | instid1(VALU_DEP_1)
	v_lshlrev_b64_e32 v[24:25], s10, v[4:5]
	s_add_nc_u64 s[10:11], s[10:11], 8
	v_or_b32_e32 v22, v24, v22
	s_delay_alu instid0(VALU_DEP_2)
	v_or_b32_e32 v23, v25, v23
	s_cbranch_scc1 .LBB6_2613
.LBB6_2614:                             ;   in Loop: Header=BB6_2568 Depth=1
	s_wait_xcnt 0x0
	s_cbranch_execz .LBB6_2616
	s_branch .LBB6_2617
.LBB6_2615:                             ;   in Loop: Header=BB6_2568 Depth=1
	s_wait_xcnt 0x0
.LBB6_2616:                             ;   in Loop: Header=BB6_2568 Depth=1
	global_load_b64 v[22:23], v5, s[0:1]
.LBB6_2617:                             ;   in Loop: Header=BB6_2568 Depth=1
	s_wait_xcnt 0x0
	v_readfirstlane_b32 s0, v32
	v_mov_b64_e32 v[28:29], 0
	s_delay_alu instid0(VALU_DEP_2)
	v_cmp_eq_u32_e64 s0, s0, v32
	s_and_saveexec_b32 s1, s0
	s_cbranch_execz .LBB6_2623
; %bb.2618:                             ;   in Loop: Header=BB6_2568 Depth=1
	global_load_b64 v[26:27], v5, s[2:3] offset:24 scope:SCOPE_SYS
	s_wait_loadcnt 0x0
	global_inv scope:SCOPE_SYS
	s_clause 0x1
	global_load_b64 v[24:25], v5, s[2:3] offset:40
	global_load_b64 v[28:29], v5, s[2:3]
	s_mov_b32 s10, exec_lo
	s_wait_loadcnt 0x1
	v_and_b32_e32 v24, v24, v26
	v_and_b32_e32 v25, v25, v27
	s_delay_alu instid0(VALU_DEP_1) | instskip(SKIP_1) | instid1(VALU_DEP_1)
	v_mul_u64_e32 v[24:25], 24, v[24:25]
	s_wait_loadcnt 0x0
	v_add_nc_u64_e32 v[24:25], v[28:29], v[24:25]
	global_load_b64 v[24:25], v[24:25], off scope:SCOPE_SYS
	s_wait_xcnt 0x0
	s_wait_loadcnt 0x0
	global_atomic_cmpswap_b64 v[28:29], v5, v[24:27], s[2:3] offset:24 th:TH_ATOMIC_RETURN scope:SCOPE_SYS
	s_wait_loadcnt 0x0
	global_inv scope:SCOPE_SYS
	s_wait_xcnt 0x0
	v_cmpx_ne_u64_e64 v[28:29], v[26:27]
	s_cbranch_execz .LBB6_2622
; %bb.2619:                             ;   in Loop: Header=BB6_2568 Depth=1
	s_mov_b32 s11, 0
.LBB6_2620:                             ;   Parent Loop BB6_2568 Depth=1
                                        ; =>  This Inner Loop Header: Depth=2
	s_sleep 1
	s_clause 0x1
	global_load_b64 v[24:25], v5, s[2:3] offset:40
	global_load_b64 v[30:31], v5, s[2:3]
	v_mov_b64_e32 v[26:27], v[28:29]
	s_wait_loadcnt 0x1
	s_delay_alu instid0(VALU_DEP_1) | instskip(SKIP_1) | instid1(VALU_DEP_1)
	v_and_b32_e32 v1, v24, v26
	s_wait_loadcnt 0x0
	v_mad_nc_u64_u32 v[28:29], v1, 24, v[30:31]
	s_delay_alu instid0(VALU_DEP_3) | instskip(NEXT) | instid1(VALU_DEP_1)
	v_and_b32_e32 v1, v25, v27
	v_mad_u32 v29, v1, 24, v29
	global_load_b64 v[24:25], v[28:29], off scope:SCOPE_SYS
	s_wait_xcnt 0x0
	s_wait_loadcnt 0x0
	global_atomic_cmpswap_b64 v[28:29], v5, v[24:27], s[2:3] offset:24 th:TH_ATOMIC_RETURN scope:SCOPE_SYS
	s_wait_loadcnt 0x0
	global_inv scope:SCOPE_SYS
	v_cmp_eq_u64_e32 vcc_lo, v[28:29], v[26:27]
	s_or_b32 s11, vcc_lo, s11
	s_wait_xcnt 0x0
	s_and_not1_b32 exec_lo, exec_lo, s11
	s_cbranch_execnz .LBB6_2620
; %bb.2621:                             ;   in Loop: Header=BB6_2568 Depth=1
	s_or_b32 exec_lo, exec_lo, s11
.LBB6_2622:                             ;   in Loop: Header=BB6_2568 Depth=1
	s_delay_alu instid0(SALU_CYCLE_1)
	s_or_b32 exec_lo, exec_lo, s10
.LBB6_2623:                             ;   in Loop: Header=BB6_2568 Depth=1
	s_delay_alu instid0(SALU_CYCLE_1)
	s_or_b32 exec_lo, exec_lo, s1
	s_clause 0x1
	global_load_b64 v[30:31], v5, s[2:3] offset:40
	global_load_b128 v[24:27], v5, s[2:3]
	v_readfirstlane_b32 s10, v28
	v_readfirstlane_b32 s11, v29
	s_mov_b32 s1, exec_lo
	s_wait_loadcnt 0x1
	v_and_b32_e32 v30, s10, v30
	v_and_b32_e32 v31, s11, v31
	s_delay_alu instid0(VALU_DEP_1) | instskip(SKIP_1) | instid1(VALU_DEP_1)
	v_mul_u64_e32 v[28:29], 24, v[30:31]
	s_wait_loadcnt 0x0
	v_add_nc_u64_e32 v[28:29], v[24:25], v[28:29]
	s_wait_xcnt 0x0
	s_and_saveexec_b32 s12, s0
	s_cbranch_execz .LBB6_2625
; %bb.2624:                             ;   in Loop: Header=BB6_2568 Depth=1
	v_mov_b32_e32 v4, s1
	global_store_b128 v[28:29], v[4:7], off offset:8
.LBB6_2625:                             ;   in Loop: Header=BB6_2568 Depth=1
	s_wait_xcnt 0x0
	s_or_b32 exec_lo, exec_lo, s12
	v_cmp_gt_u64_e64 s1, s[6:7], 56
	v_lshlrev_b64_e32 v[30:31], 12, v[30:31]
	v_and_b32_e32 v1, 0xffffff1f, v8
	s_and_b32 s1, s1, exec_lo
	s_delay_alu instid0(VALU_DEP_2) | instskip(SKIP_4) | instid1(VALU_DEP_2)
	v_add_nc_u64_e32 v[26:27], v[26:27], v[30:31]
	s_cselect_b32 s1, 0, 2
	s_lshl_b32 s12, s8, 2
	v_or_b32_e32 v1, s1, v1
	s_add_co_i32 s1, s12, 28
	v_readfirstlane_b32 s12, v26
	s_delay_alu instid0(VALU_DEP_3) | instskip(NEXT) | instid1(VALU_DEP_3)
	v_readfirstlane_b32 s13, v27
	v_and_or_b32 v8, 0x1e0, s1, v1
	s_clause 0x3
	global_store_b128 v0, v[8:11], s[12:13]
	global_store_b128 v0, v[12:15], s[12:13] offset:16
	global_store_b128 v0, v[16:19], s[12:13] offset:32
	;; [unrolled: 1-line block ×3, first 2 shown]
	s_wait_xcnt 0x0
	s_and_saveexec_b32 s1, s0
	s_cbranch_execz .LBB6_2633
; %bb.2626:                             ;   in Loop: Header=BB6_2568 Depth=1
	s_clause 0x1
	global_load_b64 v[16:17], v5, s[2:3] offset:32 scope:SCOPE_SYS
	global_load_b64 v[8:9], v5, s[2:3] offset:40
	s_mov_b32 s12, exec_lo
	v_dual_mov_b32 v14, s10 :: v_dual_mov_b32 v15, s11
	s_wait_loadcnt 0x0
	v_and_b32_e32 v9, s11, v9
	v_and_b32_e32 v8, s10, v8
	s_delay_alu instid0(VALU_DEP_1) | instskip(NEXT) | instid1(VALU_DEP_1)
	v_mul_u64_e32 v[8:9], 24, v[8:9]
	v_add_nc_u64_e32 v[12:13], v[24:25], v[8:9]
	global_store_b64 v[12:13], v[16:17], off
	global_wb scope:SCOPE_SYS
	s_wait_storecnt 0x0
	s_wait_xcnt 0x0
	global_atomic_cmpswap_b64 v[10:11], v5, v[14:17], s[2:3] offset:32 th:TH_ATOMIC_RETURN scope:SCOPE_SYS
	s_wait_loadcnt 0x0
	v_cmpx_ne_u64_e64 v[10:11], v[16:17]
	s_cbranch_execz .LBB6_2629
; %bb.2627:                             ;   in Loop: Header=BB6_2568 Depth=1
	s_mov_b32 s13, 0
.LBB6_2628:                             ;   Parent Loop BB6_2568 Depth=1
                                        ; =>  This Inner Loop Header: Depth=2
	v_dual_mov_b32 v8, s10 :: v_dual_mov_b32 v9, s11
	s_sleep 1
	global_store_b64 v[12:13], v[10:11], off
	global_wb scope:SCOPE_SYS
	s_wait_storecnt 0x0
	s_wait_xcnt 0x0
	global_atomic_cmpswap_b64 v[8:9], v5, v[8:11], s[2:3] offset:32 th:TH_ATOMIC_RETURN scope:SCOPE_SYS
	s_wait_loadcnt 0x0
	v_cmp_eq_u64_e32 vcc_lo, v[8:9], v[10:11]
	v_mov_b64_e32 v[10:11], v[8:9]
	s_or_b32 s13, vcc_lo, s13
	s_delay_alu instid0(SALU_CYCLE_1)
	s_and_not1_b32 exec_lo, exec_lo, s13
	s_cbranch_execnz .LBB6_2628
.LBB6_2629:                             ;   in Loop: Header=BB6_2568 Depth=1
	s_or_b32 exec_lo, exec_lo, s12
	global_load_b64 v[8:9], v5, s[2:3] offset:16
	s_mov_b32 s13, exec_lo
	s_mov_b32 s12, exec_lo
	v_mbcnt_lo_u32_b32 v1, s13, 0
	s_wait_xcnt 0x0
	s_delay_alu instid0(VALU_DEP_1)
	v_cmpx_eq_u32_e32 0, v1
	s_cbranch_execz .LBB6_2631
; %bb.2630:                             ;   in Loop: Header=BB6_2568 Depth=1
	s_bcnt1_i32_b32 s13, s13
	s_delay_alu instid0(SALU_CYCLE_1)
	v_mov_b32_e32 v4, s13
	global_wb scope:SCOPE_SYS
	s_wait_loadcnt 0x0
	s_wait_storecnt 0x0
	global_atomic_add_u64 v[8:9], v[4:5], off offset:8 scope:SCOPE_SYS
.LBB6_2631:                             ;   in Loop: Header=BB6_2568 Depth=1
	s_wait_xcnt 0x0
	s_or_b32 exec_lo, exec_lo, s12
	s_wait_loadcnt 0x0
	global_load_b64 v[10:11], v[8:9], off offset:16
	s_wait_loadcnt 0x0
	v_cmp_eq_u64_e32 vcc_lo, 0, v[10:11]
	s_cbranch_vccnz .LBB6_2633
; %bb.2632:                             ;   in Loop: Header=BB6_2568 Depth=1
	global_load_b32 v4, v[8:9], off offset:24
	s_wait_loadcnt 0x0
	v_readfirstlane_b32 s12, v4
	global_wb scope:SCOPE_SYS
	s_wait_storecnt 0x0
	s_wait_xcnt 0x0
	global_store_b64 v[10:11], v[4:5], off scope:SCOPE_SYS
	s_and_b32 m0, s12, 0xffffff
	s_sendmsg sendmsg(MSG_INTERRUPT)
.LBB6_2633:                             ;   in Loop: Header=BB6_2568 Depth=1
	s_wait_xcnt 0x0
	s_or_b32 exec_lo, exec_lo, s1
	v_mov_b32_e32 v1, v5
	s_delay_alu instid0(VALU_DEP_1)
	v_add_nc_u64_e32 v[8:9], v[26:27], v[0:1]
	s_branch .LBB6_2637
.LBB6_2634:                             ;   in Loop: Header=BB6_2637 Depth=2
	s_wait_xcnt 0x0
	s_or_b32 exec_lo, exec_lo, s1
	s_delay_alu instid0(VALU_DEP_1)
	v_readfirstlane_b32 s1, v1
	s_cmp_eq_u32 s1, 0
	s_cbranch_scc1 .LBB6_2636
; %bb.2635:                             ;   in Loop: Header=BB6_2637 Depth=2
	s_sleep 1
	s_cbranch_execnz .LBB6_2637
	s_branch .LBB6_2639
.LBB6_2636:                             ;   in Loop: Header=BB6_2568 Depth=1
	s_branch .LBB6_2639
.LBB6_2637:                             ;   Parent Loop BB6_2568 Depth=1
                                        ; =>  This Inner Loop Header: Depth=2
	v_mov_b32_e32 v1, 1
	s_and_saveexec_b32 s1, s0
	s_cbranch_execz .LBB6_2634
; %bb.2638:                             ;   in Loop: Header=BB6_2637 Depth=2
	global_load_b32 v1, v[28:29], off offset:20 scope:SCOPE_SYS
	s_wait_loadcnt 0x0
	global_inv scope:SCOPE_SYS
	v_and_b32_e32 v1, 1, v1
	s_branch .LBB6_2634
.LBB6_2639:                             ;   in Loop: Header=BB6_2568 Depth=1
	global_load_b128 v[8:11], v[8:9], off
	s_wait_xcnt 0x0
	s_and_saveexec_b32 s12, s0
	s_cbranch_execz .LBB6_2567
; %bb.2640:                             ;   in Loop: Header=BB6_2568 Depth=1
	s_wait_loadcnt 0x0
	s_clause 0x2
	global_load_b64 v[10:11], v5, s[2:3] offset:40
	global_load_b64 v[18:19], v5, s[2:3] offset:24 scope:SCOPE_SYS
	global_load_b64 v[12:13], v5, s[2:3]
	s_wait_loadcnt 0x2
	v_readfirstlane_b32 s14, v10
	v_readfirstlane_b32 s15, v11
	s_add_nc_u64 s[0:1], s[14:15], 1
	s_delay_alu instid0(SALU_CYCLE_1) | instskip(NEXT) | instid1(SALU_CYCLE_1)
	s_add_nc_u64 s[10:11], s[0:1], s[10:11]
	s_cmp_eq_u64 s[10:11], 0
	s_cselect_b32 s1, s1, s11
	s_cselect_b32 s0, s0, s10
	s_delay_alu instid0(SALU_CYCLE_1) | instskip(SKIP_1) | instid1(SALU_CYCLE_1)
	v_dual_mov_b32 v17, s1 :: v_dual_mov_b32 v16, s0
	s_and_b64 s[10:11], s[0:1], s[14:15]
	s_mul_u64 s[10:11], s[10:11], 24
	s_wait_loadcnt 0x0
	v_add_nc_u64_e32 v[14:15], s[10:11], v[12:13]
	global_store_b64 v[14:15], v[18:19], off
	global_wb scope:SCOPE_SYS
	s_wait_storecnt 0x0
	s_wait_xcnt 0x0
	global_atomic_cmpswap_b64 v[12:13], v5, v[16:19], s[2:3] offset:24 th:TH_ATOMIC_RETURN scope:SCOPE_SYS
	s_wait_loadcnt 0x0
	v_cmp_ne_u64_e32 vcc_lo, v[12:13], v[18:19]
	s_and_b32 exec_lo, exec_lo, vcc_lo
	s_cbranch_execz .LBB6_2567
; %bb.2641:                             ;   in Loop: Header=BB6_2568 Depth=1
	s_mov_b32 s10, 0
.LBB6_2642:                             ;   Parent Loop BB6_2568 Depth=1
                                        ; =>  This Inner Loop Header: Depth=2
	v_dual_mov_b32 v10, s0 :: v_dual_mov_b32 v11, s1
	s_sleep 1
	global_store_b64 v[14:15], v[12:13], off
	global_wb scope:SCOPE_SYS
	s_wait_storecnt 0x0
	s_wait_xcnt 0x0
	global_atomic_cmpswap_b64 v[10:11], v5, v[10:13], s[2:3] offset:24 th:TH_ATOMIC_RETURN scope:SCOPE_SYS
	s_wait_loadcnt 0x0
	v_cmp_eq_u64_e32 vcc_lo, v[10:11], v[12:13]
	v_mov_b64_e32 v[12:13], v[10:11]
	s_or_b32 s10, vcc_lo, s10
	s_delay_alu instid0(SALU_CYCLE_1)
	s_and_not1_b32 exec_lo, exec_lo, s10
	s_cbranch_execnz .LBB6_2642
	s_branch .LBB6_2567
.LBB6_2643:
	s_mov_b32 s0, 0
	s_branch .LBB6_2645
.LBB6_2644:
	s_mov_b32 s0, -1
.LBB6_2645:
	s_delay_alu instid0(SALU_CYCLE_1)
	s_and_b32 vcc_lo, exec_lo, s0
	s_cbranch_vccz .LBB6_2673
; %bb.2646:
	v_readfirstlane_b32 s0, v32
	s_wait_loadcnt 0x0
	v_mov_b64_e32 v[10:11], 0
	s_delay_alu instid0(VALU_DEP_2)
	v_cmp_eq_u32_e64 s0, s0, v32
	s_and_saveexec_b32 s1, s0
	s_cbranch_execz .LBB6_2652
; %bb.2647:
	v_mov_b32_e32 v1, 0
	s_mov_b32 s4, exec_lo
	global_load_b64 v[6:7], v1, s[2:3] offset:24 scope:SCOPE_SYS
	s_wait_loadcnt 0x0
	global_inv scope:SCOPE_SYS
	s_clause 0x1
	global_load_b64 v[4:5], v1, s[2:3] offset:40
	global_load_b64 v[8:9], v1, s[2:3]
	s_wait_loadcnt 0x1
	v_and_b32_e32 v4, v4, v6
	v_and_b32_e32 v5, v5, v7
	s_delay_alu instid0(VALU_DEP_1) | instskip(SKIP_1) | instid1(VALU_DEP_1)
	v_mul_u64_e32 v[4:5], 24, v[4:5]
	s_wait_loadcnt 0x0
	v_add_nc_u64_e32 v[4:5], v[8:9], v[4:5]
	global_load_b64 v[4:5], v[4:5], off scope:SCOPE_SYS
	s_wait_xcnt 0x0
	s_wait_loadcnt 0x0
	global_atomic_cmpswap_b64 v[10:11], v1, v[4:7], s[2:3] offset:24 th:TH_ATOMIC_RETURN scope:SCOPE_SYS
	s_wait_loadcnt 0x0
	global_inv scope:SCOPE_SYS
	s_wait_xcnt 0x0
	v_cmpx_ne_u64_e64 v[10:11], v[6:7]
	s_cbranch_execz .LBB6_2651
; %bb.2648:
	s_mov_b32 s5, 0
.LBB6_2649:                             ; =>This Inner Loop Header: Depth=1
	s_sleep 1
	s_clause 0x1
	global_load_b64 v[4:5], v1, s[2:3] offset:40
	global_load_b64 v[8:9], v1, s[2:3]
	v_mov_b64_e32 v[6:7], v[10:11]
	s_wait_loadcnt 0x1
	s_delay_alu instid0(VALU_DEP_1) | instskip(SKIP_1) | instid1(VALU_DEP_1)
	v_and_b32_e32 v4, v4, v6
	s_wait_loadcnt 0x0
	v_mad_nc_u64_u32 v[8:9], v4, 24, v[8:9]
	s_delay_alu instid0(VALU_DEP_3) | instskip(NEXT) | instid1(VALU_DEP_1)
	v_and_b32_e32 v4, v5, v7
	v_mad_u32 v9, v4, 24, v9
	global_load_b64 v[4:5], v[8:9], off scope:SCOPE_SYS
	s_wait_xcnt 0x0
	s_wait_loadcnt 0x0
	global_atomic_cmpswap_b64 v[10:11], v1, v[4:7], s[2:3] offset:24 th:TH_ATOMIC_RETURN scope:SCOPE_SYS
	s_wait_loadcnt 0x0
	global_inv scope:SCOPE_SYS
	v_cmp_eq_u64_e32 vcc_lo, v[10:11], v[6:7]
	s_or_b32 s5, vcc_lo, s5
	s_wait_xcnt 0x0
	s_and_not1_b32 exec_lo, exec_lo, s5
	s_cbranch_execnz .LBB6_2649
; %bb.2650:
	s_or_b32 exec_lo, exec_lo, s5
.LBB6_2651:
	s_delay_alu instid0(SALU_CYCLE_1)
	s_or_b32 exec_lo, exec_lo, s4
.LBB6_2652:
	s_delay_alu instid0(SALU_CYCLE_1)
	s_or_b32 exec_lo, exec_lo, s1
	v_readfirstlane_b32 s4, v10
	v_mov_b32_e32 v4, 0
	v_readfirstlane_b32 s5, v11
	s_mov_b32 s1, exec_lo
	s_clause 0x1
	global_load_b64 v[12:13], v4, s[2:3] offset:40
	global_load_b128 v[6:9], v4, s[2:3]
	s_wait_loadcnt 0x1
	v_and_b32_e32 v12, s4, v12
	v_and_b32_e32 v13, s5, v13
	s_delay_alu instid0(VALU_DEP_1) | instskip(SKIP_1) | instid1(VALU_DEP_1)
	v_mul_u64_e32 v[10:11], 24, v[12:13]
	s_wait_loadcnt 0x0
	v_add_nc_u64_e32 v[10:11], v[6:7], v[10:11]
	s_wait_xcnt 0x0
	s_and_saveexec_b32 s6, s0
	s_cbranch_execz .LBB6_2654
; %bb.2653:
	v_mov_b64_e32 v[16:17], 0x100000002
	v_dual_mov_b32 v14, s1 :: v_dual_mov_b32 v15, v4
	global_store_b128 v[10:11], v[14:17], off offset:8
.LBB6_2654:
	s_wait_xcnt 0x0
	s_or_b32 exec_lo, exec_lo, s6
	v_lshlrev_b64_e32 v[12:13], 12, v[12:13]
	s_mov_b32 s8, 0
	v_and_or_b32 v2, 0xffffff1d, v2, 34
	s_mov_b32 s10, s8
	s_mov_b32 s11, s8
	;; [unrolled: 1-line block ×3, first 2 shown]
	v_mov_b32_e32 v5, v4
	v_add_nc_u64_e32 v[8:9], v[8:9], v[12:13]
	v_mov_b64_e32 v[14:15], s[10:11]
	v_mov_b64_e32 v[12:13], s[8:9]
	s_delay_alu instid0(VALU_DEP_3) | instskip(NEXT) | instid1(VALU_DEP_4)
	v_readfirstlane_b32 s6, v8
	v_readfirstlane_b32 s7, v9
	s_clause 0x3
	global_store_b128 v0, v[2:5], s[6:7]
	global_store_b128 v0, v[12:15], s[6:7] offset:16
	global_store_b128 v0, v[12:15], s[6:7] offset:32
	;; [unrolled: 1-line block ×3, first 2 shown]
	s_wait_xcnt 0x0
	s_and_saveexec_b32 s1, s0
	s_cbranch_execz .LBB6_2662
; %bb.2655:
	v_dual_mov_b32 v8, 0 :: v_dual_mov_b32 v13, s5
	s_mov_b32 s6, exec_lo
	s_clause 0x1
	global_load_b64 v[14:15], v8, s[2:3] offset:32 scope:SCOPE_SYS
	global_load_b64 v[0:1], v8, s[2:3] offset:40
	s_wait_loadcnt 0x0
	v_dual_mov_b32 v12, s4 :: v_dual_bitop2_b32 v1, s5, v1 bitop3:0x40
	v_and_b32_e32 v0, s4, v0
	s_delay_alu instid0(VALU_DEP_1) | instskip(NEXT) | instid1(VALU_DEP_1)
	v_mul_u64_e32 v[0:1], 24, v[0:1]
	v_add_nc_u64_e32 v[4:5], v[6:7], v[0:1]
	global_store_b64 v[4:5], v[14:15], off
	global_wb scope:SCOPE_SYS
	s_wait_storecnt 0x0
	s_wait_xcnt 0x0
	global_atomic_cmpswap_b64 v[2:3], v8, v[12:15], s[2:3] offset:32 th:TH_ATOMIC_RETURN scope:SCOPE_SYS
	s_wait_loadcnt 0x0
	v_cmpx_ne_u64_e64 v[2:3], v[14:15]
	s_cbranch_execz .LBB6_2658
; %bb.2656:
	s_mov_b32 s7, 0
.LBB6_2657:                             ; =>This Inner Loop Header: Depth=1
	v_dual_mov_b32 v0, s4 :: v_dual_mov_b32 v1, s5
	s_sleep 1
	global_store_b64 v[4:5], v[2:3], off
	global_wb scope:SCOPE_SYS
	s_wait_storecnt 0x0
	s_wait_xcnt 0x0
	global_atomic_cmpswap_b64 v[0:1], v8, v[0:3], s[2:3] offset:32 th:TH_ATOMIC_RETURN scope:SCOPE_SYS
	s_wait_loadcnt 0x0
	v_cmp_eq_u64_e32 vcc_lo, v[0:1], v[2:3]
	v_mov_b64_e32 v[2:3], v[0:1]
	s_or_b32 s7, vcc_lo, s7
	s_delay_alu instid0(SALU_CYCLE_1)
	s_and_not1_b32 exec_lo, exec_lo, s7
	s_cbranch_execnz .LBB6_2657
.LBB6_2658:
	s_or_b32 exec_lo, exec_lo, s6
	v_mov_b32_e32 v3, 0
	s_mov_b32 s7, exec_lo
	s_mov_b32 s6, exec_lo
	v_mbcnt_lo_u32_b32 v2, s7, 0
	global_load_b64 v[0:1], v3, s[2:3] offset:16
	s_wait_xcnt 0x0
	v_cmpx_eq_u32_e32 0, v2
	s_cbranch_execz .LBB6_2660
; %bb.2659:
	s_bcnt1_i32_b32 s7, s7
	s_delay_alu instid0(SALU_CYCLE_1)
	v_mov_b32_e32 v2, s7
	global_wb scope:SCOPE_SYS
	s_wait_loadcnt 0x0
	s_wait_storecnt 0x0
	global_atomic_add_u64 v[0:1], v[2:3], off offset:8 scope:SCOPE_SYS
.LBB6_2660:
	s_wait_xcnt 0x0
	s_or_b32 exec_lo, exec_lo, s6
	s_wait_loadcnt 0x0
	global_load_b64 v[2:3], v[0:1], off offset:16
	s_wait_loadcnt 0x0
	v_cmp_eq_u64_e32 vcc_lo, 0, v[2:3]
	s_cbranch_vccnz .LBB6_2662
; %bb.2661:
	global_load_b32 v0, v[0:1], off offset:24
	s_wait_xcnt 0x0
	v_mov_b32_e32 v1, 0
	s_wait_loadcnt 0x0
	v_readfirstlane_b32 s6, v0
	global_wb scope:SCOPE_SYS
	s_wait_storecnt 0x0
	global_store_b64 v[2:3], v[0:1], off scope:SCOPE_SYS
	s_and_b32 m0, s6, 0xffffff
	s_sendmsg sendmsg(MSG_INTERRUPT)
.LBB6_2662:
	s_wait_xcnt 0x0
	s_or_b32 exec_lo, exec_lo, s1
	s_branch .LBB6_2666
.LBB6_2663:                             ;   in Loop: Header=BB6_2666 Depth=1
	s_wait_xcnt 0x0
	s_or_b32 exec_lo, exec_lo, s1
	s_delay_alu instid0(VALU_DEP_1)
	v_readfirstlane_b32 s1, v0
	s_cmp_eq_u32 s1, 0
	s_cbranch_scc1 .LBB6_2665
; %bb.2664:                             ;   in Loop: Header=BB6_2666 Depth=1
	s_sleep 1
	s_cbranch_execnz .LBB6_2666
	s_branch .LBB6_2668
.LBB6_2665:
	s_branch .LBB6_2668
.LBB6_2666:                             ; =>This Inner Loop Header: Depth=1
	v_mov_b32_e32 v0, 1
	s_and_saveexec_b32 s1, s0
	s_cbranch_execz .LBB6_2663
; %bb.2667:                             ;   in Loop: Header=BB6_2666 Depth=1
	global_load_b32 v0, v[10:11], off offset:20 scope:SCOPE_SYS
	s_wait_loadcnt 0x0
	global_inv scope:SCOPE_SYS
	v_and_b32_e32 v0, 1, v0
	s_branch .LBB6_2663
.LBB6_2668:
	s_and_saveexec_b32 s6, s0
	s_cbranch_execz .LBB6_2672
; %bb.2669:
	v_mov_b32_e32 v6, 0
	s_clause 0x2
	global_load_b64 v[0:1], v6, s[2:3] offset:40
	global_load_b64 v[10:11], v6, s[2:3] offset:24 scope:SCOPE_SYS
	global_load_b64 v[2:3], v6, s[2:3]
	s_wait_loadcnt 0x2
	v_readfirstlane_b32 s8, v0
	v_readfirstlane_b32 s9, v1
	s_add_nc_u64 s[0:1], s[8:9], 1
	s_delay_alu instid0(SALU_CYCLE_1) | instskip(NEXT) | instid1(SALU_CYCLE_1)
	s_add_nc_u64 s[4:5], s[0:1], s[4:5]
	s_cmp_eq_u64 s[4:5], 0
	s_cselect_b32 s1, s1, s5
	s_cselect_b32 s0, s0, s4
	v_mov_b32_e32 v9, s1
	s_and_b64 s[4:5], s[0:1], s[8:9]
	v_mov_b32_e32 v8, s0
	s_mul_u64 s[4:5], s[4:5], 24
	s_wait_loadcnt 0x0
	v_add_nc_u64_e32 v[4:5], s[4:5], v[2:3]
	global_store_b64 v[4:5], v[10:11], off
	global_wb scope:SCOPE_SYS
	s_wait_storecnt 0x0
	s_wait_xcnt 0x0
	global_atomic_cmpswap_b64 v[2:3], v6, v[8:11], s[2:3] offset:24 th:TH_ATOMIC_RETURN scope:SCOPE_SYS
	s_wait_loadcnt 0x0
	v_cmp_ne_u64_e32 vcc_lo, v[2:3], v[10:11]
	s_and_b32 exec_lo, exec_lo, vcc_lo
	s_cbranch_execz .LBB6_2672
; %bb.2670:
	s_mov_b32 s4, 0
.LBB6_2671:                             ; =>This Inner Loop Header: Depth=1
	v_dual_mov_b32 v0, s0 :: v_dual_mov_b32 v1, s1
	s_sleep 1
	global_store_b64 v[4:5], v[2:3], off
	global_wb scope:SCOPE_SYS
	s_wait_storecnt 0x0
	s_wait_xcnt 0x0
	global_atomic_cmpswap_b64 v[0:1], v6, v[0:3], s[2:3] offset:24 th:TH_ATOMIC_RETURN scope:SCOPE_SYS
	s_wait_loadcnt 0x0
	v_cmp_eq_u64_e32 vcc_lo, v[0:1], v[2:3]
	v_mov_b64_e32 v[2:3], v[0:1]
	s_or_b32 s4, vcc_lo, s4
	s_delay_alu instid0(SALU_CYCLE_1)
	s_and_not1_b32 exec_lo, exec_lo, s4
	s_cbranch_execnz .LBB6_2671
.LBB6_2672:
	s_or_b32 exec_lo, exec_lo, s6
.LBB6_2673:
	s_get_pc_i64 s[0:1]
	s_add_nc_u64 s[0:1], s[0:1], .str.29@rel64+4
	s_get_pc_i64 s[2:3]
	s_add_nc_u64 s[2:3], s[2:3], .str.19@rel64+4
	s_get_pc_i64 s[4:5]
	s_add_nc_u64 s[4:5], s[4:5], __PRETTY_FUNCTION__._ZN7VecsMemIjLi8192EE5fetchEi@rel64+4
	v_dual_mov_b32 v0, s0 :: v_dual_mov_b32 v1, s1
	s_wait_loadcnt 0x0
	v_dual_mov_b32 v2, s2 :: v_dual_mov_b32 v3, s3
	v_dual_mov_b32 v4, 12 :: v_dual_mov_b32 v5, s4
	v_mov_b32_e32 v6, s5
	s_get_pc_i64 s[6:7]
	s_add_nc_u64 s[6:7], s[6:7], __assert_fail@rel64+4
	s_mov_b64 s[8:9], s[52:53]
	s_swap_pc_i64 s[30:31], s[6:7]
	s_or_b32 s18, s18, exec_lo
.LBB6_2674:
	s_or_b32 exec_lo, exec_lo, s17
	s_and_saveexec_b32 s0, s25
	s_delay_alu instid0(SALU_CYCLE_1)
	s_xor_b32 s17, exec_lo, s0
	s_cbranch_execz .LBB6_2810
; %bb.2675:
	s_load_b64 s[2:3], s[52:53], 0x50
	v_mbcnt_lo_u32_b32 v32, -1, 0
	v_mov_b64_e32 v[2:3], 0
	s_delay_alu instid0(VALU_DEP_2) | instskip(NEXT) | instid1(VALU_DEP_1)
	v_readfirstlane_b32 s0, v32
	v_cmp_eq_u32_e64 s0, s0, v32
	s_and_saveexec_b32 s1, s0
	s_cbranch_execz .LBB6_2681
; %bb.2676:
	v_mov_b32_e32 v0, 0
	s_mov_b32 s4, exec_lo
	s_wait_kmcnt 0x0
	global_load_b64 v[4:5], v0, s[2:3] offset:24 scope:SCOPE_SYS
	s_wait_loadcnt 0x0
	global_inv scope:SCOPE_SYS
	s_clause 0x1
	global_load_b64 v[2:3], v0, s[2:3] offset:40
	global_load_b64 v[6:7], v0, s[2:3]
	s_wait_loadcnt 0x1
	v_and_b32_e32 v2, v2, v4
	v_and_b32_e32 v3, v3, v5
	s_delay_alu instid0(VALU_DEP_1) | instskip(SKIP_1) | instid1(VALU_DEP_1)
	v_mul_u64_e32 v[2:3], 24, v[2:3]
	s_wait_loadcnt 0x0
	v_add_nc_u64_e32 v[2:3], v[6:7], v[2:3]
	global_load_b64 v[2:3], v[2:3], off scope:SCOPE_SYS
	s_wait_xcnt 0x0
	s_wait_loadcnt 0x0
	global_atomic_cmpswap_b64 v[2:3], v0, v[2:5], s[2:3] offset:24 th:TH_ATOMIC_RETURN scope:SCOPE_SYS
	s_wait_loadcnt 0x0
	global_inv scope:SCOPE_SYS
	s_wait_xcnt 0x0
	v_cmpx_ne_u64_e64 v[2:3], v[4:5]
	s_cbranch_execz .LBB6_2680
; %bb.2677:
	s_mov_b32 s5, 0
.LBB6_2678:                             ; =>This Inner Loop Header: Depth=1
	s_sleep 1
	s_clause 0x1
	global_load_b64 v[6:7], v0, s[2:3] offset:40
	global_load_b64 v[8:9], v0, s[2:3]
	v_mov_b64_e32 v[4:5], v[2:3]
	s_wait_loadcnt 0x1
	s_delay_alu instid0(VALU_DEP_1) | instskip(SKIP_1) | instid1(VALU_DEP_1)
	v_and_b32_e32 v1, v6, v4
	s_wait_loadcnt 0x0
	v_mad_nc_u64_u32 v[2:3], v1, 24, v[8:9]
	s_delay_alu instid0(VALU_DEP_3) | instskip(NEXT) | instid1(VALU_DEP_1)
	v_and_b32_e32 v1, v7, v5
	v_mad_u32 v3, v1, 24, v3
	global_load_b64 v[2:3], v[2:3], off scope:SCOPE_SYS
	s_wait_xcnt 0x0
	s_wait_loadcnt 0x0
	global_atomic_cmpswap_b64 v[2:3], v0, v[2:5], s[2:3] offset:24 th:TH_ATOMIC_RETURN scope:SCOPE_SYS
	s_wait_loadcnt 0x0
	global_inv scope:SCOPE_SYS
	v_cmp_eq_u64_e32 vcc_lo, v[2:3], v[4:5]
	s_or_b32 s5, vcc_lo, s5
	s_wait_xcnt 0x0
	s_and_not1_b32 exec_lo, exec_lo, s5
	s_cbranch_execnz .LBB6_2678
; %bb.2679:
	s_or_b32 exec_lo, exec_lo, s5
.LBB6_2680:
	s_delay_alu instid0(SALU_CYCLE_1)
	s_or_b32 exec_lo, exec_lo, s4
.LBB6_2681:
	s_delay_alu instid0(SALU_CYCLE_1)
	s_or_b32 exec_lo, exec_lo, s1
	v_readfirstlane_b32 s4, v2
	v_mov_b32_e32 v1, 0
	v_readfirstlane_b32 s5, v3
	s_mov_b32 s1, exec_lo
	s_wait_kmcnt 0x0
	s_clause 0x1
	global_load_b64 v[8:9], v1, s[2:3] offset:40
	global_load_b128 v[4:7], v1, s[2:3]
	s_wait_loadcnt 0x1
	v_and_b32_e32 v10, s4, v8
	v_and_b32_e32 v11, s5, v9
	s_delay_alu instid0(VALU_DEP_1) | instskip(SKIP_1) | instid1(VALU_DEP_1)
	v_mul_u64_e32 v[2:3], 24, v[10:11]
	s_wait_loadcnt 0x0
	v_add_nc_u64_e32 v[8:9], v[4:5], v[2:3]
	s_wait_xcnt 0x0
	s_and_saveexec_b32 s6, s0
	s_cbranch_execz .LBB6_2683
; %bb.2682:
	v_mov_b64_e32 v[2:3], 0x100000002
	v_mov_b32_e32 v0, s1
	global_store_b128 v[8:9], v[0:3], off offset:8
.LBB6_2683:
	s_wait_xcnt 0x0
	s_or_b32 exec_lo, exec_lo, s6
	v_lshlrev_b64_e32 v[2:3], 12, v[10:11]
	s_mov_b32 s8, 0
	v_dual_lshlrev_b32 v0, 6, v32 :: v_dual_mov_b32 v10, 33
	s_mov_b32 s10, s8
	s_mov_b32 s11, s8
	;; [unrolled: 1-line block ×3, first 2 shown]
	s_delay_alu instid0(VALU_DEP_2)
	v_add_nc_u64_e32 v[6:7], v[6:7], v[2:3]
	v_mov_b64_e32 v[16:17], s[10:11]
	v_mov_b64_e32 v[14:15], s[8:9]
	s_wait_dscnt 0x1
	v_dual_mov_b32 v11, v1 :: v_dual_mov_b32 v12, v1
	v_mov_b32_e32 v13, v1
	v_readfirstlane_b32 s6, v6
	v_readfirstlane_b32 s7, v7
	s_clause 0x3
	global_store_b128 v0, v[10:13], s[6:7]
	global_store_b128 v0, v[14:17], s[6:7] offset:16
	global_store_b128 v0, v[14:17], s[6:7] offset:32
	;; [unrolled: 1-line block ×3, first 2 shown]
	s_wait_xcnt 0x0
	s_and_saveexec_b32 s1, s0
	s_cbranch_execz .LBB6_2691
; %bb.2684:
	v_dual_mov_b32 v12, 0 :: v_dual_mov_b32 v15, s5
	s_mov_b32 s6, exec_lo
	s_clause 0x1
	global_load_b64 v[16:17], v12, s[2:3] offset:32 scope:SCOPE_SYS
	global_load_b64 v[2:3], v12, s[2:3] offset:40
	s_wait_loadcnt 0x0
	v_dual_mov_b32 v14, s4 :: v_dual_bitop2_b32 v3, s5, v3 bitop3:0x40
	v_and_b32_e32 v2, s4, v2
	s_delay_alu instid0(VALU_DEP_1) | instskip(NEXT) | instid1(VALU_DEP_1)
	v_mul_u64_e32 v[2:3], 24, v[2:3]
	v_add_nc_u64_e32 v[10:11], v[4:5], v[2:3]
	global_store_b64 v[10:11], v[16:17], off
	global_wb scope:SCOPE_SYS
	s_wait_storecnt 0x0
	s_wait_xcnt 0x0
	global_atomic_cmpswap_b64 v[4:5], v12, v[14:17], s[2:3] offset:32 th:TH_ATOMIC_RETURN scope:SCOPE_SYS
	s_wait_loadcnt 0x0
	v_cmpx_ne_u64_e64 v[4:5], v[16:17]
	s_cbranch_execz .LBB6_2687
; %bb.2685:
	s_mov_b32 s7, 0
.LBB6_2686:                             ; =>This Inner Loop Header: Depth=1
	v_dual_mov_b32 v2, s4 :: v_dual_mov_b32 v3, s5
	s_sleep 1
	global_store_b64 v[10:11], v[4:5], off
	global_wb scope:SCOPE_SYS
	s_wait_storecnt 0x0
	s_wait_xcnt 0x0
	global_atomic_cmpswap_b64 v[2:3], v12, v[2:5], s[2:3] offset:32 th:TH_ATOMIC_RETURN scope:SCOPE_SYS
	s_wait_loadcnt 0x0
	v_cmp_eq_u64_e32 vcc_lo, v[2:3], v[4:5]
	v_mov_b64_e32 v[4:5], v[2:3]
	s_or_b32 s7, vcc_lo, s7
	s_delay_alu instid0(SALU_CYCLE_1)
	s_and_not1_b32 exec_lo, exec_lo, s7
	s_cbranch_execnz .LBB6_2686
.LBB6_2687:
	s_or_b32 exec_lo, exec_lo, s6
	v_mov_b32_e32 v5, 0
	s_mov_b32 s7, exec_lo
	s_mov_b32 s6, exec_lo
	v_mbcnt_lo_u32_b32 v4, s7, 0
	global_load_b64 v[2:3], v5, s[2:3] offset:16
	s_wait_xcnt 0x0
	v_cmpx_eq_u32_e32 0, v4
	s_cbranch_execz .LBB6_2689
; %bb.2688:
	s_bcnt1_i32_b32 s7, s7
	s_delay_alu instid0(SALU_CYCLE_1)
	v_mov_b32_e32 v4, s7
	global_wb scope:SCOPE_SYS
	s_wait_loadcnt 0x0
	s_wait_storecnt 0x0
	global_atomic_add_u64 v[2:3], v[4:5], off offset:8 scope:SCOPE_SYS
.LBB6_2689:
	s_wait_xcnt 0x0
	s_or_b32 exec_lo, exec_lo, s6
	s_wait_loadcnt 0x0
	global_load_b64 v[4:5], v[2:3], off offset:16
	s_wait_loadcnt 0x0
	v_cmp_eq_u64_e32 vcc_lo, 0, v[4:5]
	s_cbranch_vccnz .LBB6_2691
; %bb.2690:
	global_load_b32 v2, v[2:3], off offset:24
	s_wait_xcnt 0x0
	v_mov_b32_e32 v3, 0
	s_wait_loadcnt 0x0
	v_readfirstlane_b32 s6, v2
	global_wb scope:SCOPE_SYS
	s_wait_storecnt 0x0
	global_store_b64 v[4:5], v[2:3], off scope:SCOPE_SYS
	s_and_b32 m0, s6, 0xffffff
	s_sendmsg sendmsg(MSG_INTERRUPT)
.LBB6_2691:
	s_wait_xcnt 0x0
	s_or_b32 exec_lo, exec_lo, s1
	v_add_nc_u64_e32 v[2:3], v[6:7], v[0:1]
	s_branch .LBB6_2695
.LBB6_2692:                             ;   in Loop: Header=BB6_2695 Depth=1
	s_wait_xcnt 0x0
	s_or_b32 exec_lo, exec_lo, s1
	s_delay_alu instid0(VALU_DEP_1)
	v_readfirstlane_b32 s1, v1
	s_cmp_eq_u32 s1, 0
	s_cbranch_scc1 .LBB6_2694
; %bb.2693:                             ;   in Loop: Header=BB6_2695 Depth=1
	s_sleep 1
	s_cbranch_execnz .LBB6_2695
	s_branch .LBB6_2697
.LBB6_2694:
	s_branch .LBB6_2697
.LBB6_2695:                             ; =>This Inner Loop Header: Depth=1
	v_mov_b32_e32 v1, 1
	s_and_saveexec_b32 s1, s0
	s_cbranch_execz .LBB6_2692
; %bb.2696:                             ;   in Loop: Header=BB6_2695 Depth=1
	global_load_b32 v1, v[8:9], off offset:20 scope:SCOPE_SYS
	s_wait_loadcnt 0x0
	global_inv scope:SCOPE_SYS
	v_and_b32_e32 v1, 1, v1
	s_branch .LBB6_2692
.LBB6_2697:
	global_load_b64 v[2:3], v[2:3], off
	s_wait_xcnt 0x0
	s_and_saveexec_b32 s6, s0
	s_cbranch_execz .LBB6_2701
; %bb.2698:
	v_mov_b32_e32 v1, 0
	s_clause 0x2
	global_load_b64 v[4:5], v1, s[2:3] offset:40
	global_load_b64 v[12:13], v1, s[2:3] offset:24 scope:SCOPE_SYS
	global_load_b64 v[6:7], v1, s[2:3]
	s_wait_loadcnt 0x2
	v_readfirstlane_b32 s8, v4
	v_readfirstlane_b32 s9, v5
	s_add_nc_u64 s[0:1], s[8:9], 1
	s_delay_alu instid0(SALU_CYCLE_1) | instskip(NEXT) | instid1(SALU_CYCLE_1)
	s_add_nc_u64 s[4:5], s[0:1], s[4:5]
	s_cmp_eq_u64 s[4:5], 0
	s_cselect_b32 s1, s1, s5
	s_cselect_b32 s0, s0, s4
	v_mov_b32_e32 v11, s1
	s_and_b64 s[4:5], s[0:1], s[8:9]
	v_mov_b32_e32 v10, s0
	s_mul_u64 s[4:5], s[4:5], 24
	s_wait_loadcnt 0x0
	v_add_nc_u64_e32 v[8:9], s[4:5], v[6:7]
	global_store_b64 v[8:9], v[12:13], off
	global_wb scope:SCOPE_SYS
	s_wait_storecnt 0x0
	s_wait_xcnt 0x0
	global_atomic_cmpswap_b64 v[6:7], v1, v[10:13], s[2:3] offset:24 th:TH_ATOMIC_RETURN scope:SCOPE_SYS
	s_wait_loadcnt 0x0
	v_cmp_ne_u64_e32 vcc_lo, v[6:7], v[12:13]
	s_and_b32 exec_lo, exec_lo, vcc_lo
	s_cbranch_execz .LBB6_2701
; %bb.2699:
	s_mov_b32 s4, 0
.LBB6_2700:                             ; =>This Inner Loop Header: Depth=1
	v_dual_mov_b32 v4, s0 :: v_dual_mov_b32 v5, s1
	s_sleep 1
	global_store_b64 v[8:9], v[6:7], off
	global_wb scope:SCOPE_SYS
	s_wait_storecnt 0x0
	s_wait_xcnt 0x0
	global_atomic_cmpswap_b64 v[4:5], v1, v[4:7], s[2:3] offset:24 th:TH_ATOMIC_RETURN scope:SCOPE_SYS
	s_wait_loadcnt 0x0
	v_cmp_eq_u64_e32 vcc_lo, v[4:5], v[6:7]
	v_mov_b64_e32 v[6:7], v[4:5]
	s_or_b32 s4, vcc_lo, s4
	s_delay_alu instid0(SALU_CYCLE_1)
	s_and_not1_b32 exec_lo, exec_lo, s4
	s_cbranch_execnz .LBB6_2700
.LBB6_2701:
	s_or_b32 exec_lo, exec_lo, s6
	s_get_pc_i64 s[4:5]
	s_add_nc_u64 s[4:5], s[4:5], .str.28@rel64+4
	s_delay_alu instid0(SALU_CYCLE_1)
	s_cmp_lg_u64 s[4:5], 0
	s_cbranch_scc0 .LBB6_2780
; %bb.2702:
	v_mov_b64_e32 v[6:7], 0x100000002
	s_wait_loadcnt 0x0
	v_dual_mov_b32 v9, v3 :: v_dual_bitop2_b32 v8, -3, v2 bitop3:0x40
	v_mov_b32_e32 v5, 0
	s_mov_b64 s[6:7], 35
	s_branch .LBB6_2704
.LBB6_2703:                             ;   in Loop: Header=BB6_2704 Depth=1
	s_or_b32 exec_lo, exec_lo, s12
	s_sub_nc_u64 s[6:7], s[6:7], s[8:9]
	s_add_nc_u64 s[4:5], s[4:5], s[8:9]
	s_cmp_lg_u64 s[6:7], 0
	s_cbranch_scc0 .LBB6_2779
.LBB6_2704:                             ; =>This Loop Header: Depth=1
                                        ;     Child Loop BB6_2707 Depth 2
                                        ;     Child Loop BB6_2714 Depth 2
	;; [unrolled: 1-line block ×11, first 2 shown]
	s_wait_loadcnt 0x0
	v_min_u64 v[10:11], s[6:7], 56
	v_cmp_gt_u64_e64 s0, s[6:7], 7
	s_and_b32 vcc_lo, exec_lo, s0
	v_readfirstlane_b32 s8, v10
	v_readfirstlane_b32 s9, v11
	s_cbranch_vccnz .LBB6_2709
; %bb.2705:                             ;   in Loop: Header=BB6_2704 Depth=1
	v_mov_b64_e32 v[10:11], 0
	s_cmp_eq_u64 s[6:7], 0
	s_cbranch_scc1 .LBB6_2708
; %bb.2706:                             ;   in Loop: Header=BB6_2704 Depth=1
	s_mov_b64 s[0:1], 0
	s_mov_b64 s[10:11], 0
.LBB6_2707:                             ;   Parent Loop BB6_2704 Depth=1
                                        ; =>  This Inner Loop Header: Depth=2
	s_wait_xcnt 0x0
	s_add_nc_u64 s[12:13], s[4:5], s[10:11]
	s_add_nc_u64 s[10:11], s[10:11], 1
	global_load_u8 v1, v5, s[12:13]
	s_cmp_lg_u32 s8, s10
	s_wait_loadcnt 0x0
	v_and_b32_e32 v4, 0xffff, v1
	s_delay_alu instid0(VALU_DEP_1) | instskip(SKIP_1) | instid1(VALU_DEP_1)
	v_lshlrev_b64_e32 v[12:13], s0, v[4:5]
	s_add_nc_u64 s[0:1], s[0:1], 8
	v_or_b32_e32 v10, v12, v10
	s_delay_alu instid0(VALU_DEP_2)
	v_or_b32_e32 v11, v13, v11
	s_cbranch_scc1 .LBB6_2707
.LBB6_2708:                             ;   in Loop: Header=BB6_2704 Depth=1
	s_mov_b64 s[10:11], s[4:5]
	s_mov_b32 s14, 0
	s_cbranch_execz .LBB6_2710
	s_branch .LBB6_2711
.LBB6_2709:                             ;   in Loop: Header=BB6_2704 Depth=1
	s_add_nc_u64 s[10:11], s[4:5], 8
	s_mov_b32 s14, 0
.LBB6_2710:                             ;   in Loop: Header=BB6_2704 Depth=1
	global_load_b64 v[10:11], v5, s[4:5]
	s_add_co_i32 s14, s8, -8
.LBB6_2711:                             ;   in Loop: Header=BB6_2704 Depth=1
	s_delay_alu instid0(SALU_CYCLE_1)
	s_cmp_gt_u32 s14, 7
	s_cbranch_scc1 .LBB6_2716
; %bb.2712:                             ;   in Loop: Header=BB6_2704 Depth=1
	v_mov_b64_e32 v[12:13], 0
	s_cmp_eq_u32 s14, 0
	s_cbranch_scc1 .LBB6_2715
; %bb.2713:                             ;   in Loop: Header=BB6_2704 Depth=1
	s_mov_b64 s[0:1], 0
	s_wait_xcnt 0x0
	s_mov_b64 s[12:13], 0
.LBB6_2714:                             ;   Parent Loop BB6_2704 Depth=1
                                        ; =>  This Inner Loop Header: Depth=2
	s_wait_xcnt 0x0
	s_add_nc_u64 s[22:23], s[10:11], s[12:13]
	s_add_nc_u64 s[12:13], s[12:13], 1
	global_load_u8 v1, v5, s[22:23]
	s_cmp_lg_u32 s14, s12
	s_wait_loadcnt 0x0
	v_and_b32_e32 v4, 0xffff, v1
	s_delay_alu instid0(VALU_DEP_1) | instskip(SKIP_1) | instid1(VALU_DEP_1)
	v_lshlrev_b64_e32 v[14:15], s0, v[4:5]
	s_add_nc_u64 s[0:1], s[0:1], 8
	v_or_b32_e32 v12, v14, v12
	s_delay_alu instid0(VALU_DEP_2)
	v_or_b32_e32 v13, v15, v13
	s_cbranch_scc1 .LBB6_2714
.LBB6_2715:                             ;   in Loop: Header=BB6_2704 Depth=1
	s_wait_xcnt 0x0
	s_mov_b64 s[0:1], s[10:11]
	s_mov_b32 s15, 0
	s_cbranch_execz .LBB6_2717
	s_branch .LBB6_2718
.LBB6_2716:                             ;   in Loop: Header=BB6_2704 Depth=1
	s_add_nc_u64 s[0:1], s[10:11], 8
	s_wait_xcnt 0x0
                                        ; implicit-def: $vgpr12_vgpr13
	s_mov_b32 s15, 0
.LBB6_2717:                             ;   in Loop: Header=BB6_2704 Depth=1
	global_load_b64 v[12:13], v5, s[10:11]
	s_add_co_i32 s15, s14, -8
.LBB6_2718:                             ;   in Loop: Header=BB6_2704 Depth=1
	s_delay_alu instid0(SALU_CYCLE_1)
	s_cmp_gt_u32 s15, 7
	s_cbranch_scc1 .LBB6_2723
; %bb.2719:                             ;   in Loop: Header=BB6_2704 Depth=1
	v_mov_b64_e32 v[14:15], 0
	s_cmp_eq_u32 s15, 0
	s_cbranch_scc1 .LBB6_2722
; %bb.2720:                             ;   in Loop: Header=BB6_2704 Depth=1
	s_wait_xcnt 0x0
	s_mov_b64 s[10:11], 0
	s_mov_b64 s[12:13], 0
.LBB6_2721:                             ;   Parent Loop BB6_2704 Depth=1
                                        ; =>  This Inner Loop Header: Depth=2
	s_wait_xcnt 0x0
	s_add_nc_u64 s[22:23], s[0:1], s[12:13]
	s_add_nc_u64 s[12:13], s[12:13], 1
	global_load_u8 v1, v5, s[22:23]
	s_cmp_lg_u32 s15, s12
	s_wait_loadcnt 0x0
	v_and_b32_e32 v4, 0xffff, v1
	s_delay_alu instid0(VALU_DEP_1) | instskip(SKIP_1) | instid1(VALU_DEP_1)
	v_lshlrev_b64_e32 v[16:17], s10, v[4:5]
	s_add_nc_u64 s[10:11], s[10:11], 8
	v_or_b32_e32 v14, v16, v14
	s_delay_alu instid0(VALU_DEP_2)
	v_or_b32_e32 v15, v17, v15
	s_cbranch_scc1 .LBB6_2721
.LBB6_2722:                             ;   in Loop: Header=BB6_2704 Depth=1
	s_wait_xcnt 0x0
	s_mov_b64 s[10:11], s[0:1]
	s_mov_b32 s14, 0
	s_cbranch_execz .LBB6_2724
	s_branch .LBB6_2725
.LBB6_2723:                             ;   in Loop: Header=BB6_2704 Depth=1
	s_wait_xcnt 0x0
	s_add_nc_u64 s[10:11], s[0:1], 8
	s_mov_b32 s14, 0
.LBB6_2724:                             ;   in Loop: Header=BB6_2704 Depth=1
	global_load_b64 v[14:15], v5, s[0:1]
	s_add_co_i32 s14, s15, -8
.LBB6_2725:                             ;   in Loop: Header=BB6_2704 Depth=1
	s_delay_alu instid0(SALU_CYCLE_1)
	s_cmp_gt_u32 s14, 7
	s_cbranch_scc1 .LBB6_2730
; %bb.2726:                             ;   in Loop: Header=BB6_2704 Depth=1
	v_mov_b64_e32 v[16:17], 0
	s_cmp_eq_u32 s14, 0
	s_cbranch_scc1 .LBB6_2729
; %bb.2727:                             ;   in Loop: Header=BB6_2704 Depth=1
	s_wait_xcnt 0x0
	s_mov_b64 s[0:1], 0
	s_mov_b64 s[12:13], 0
.LBB6_2728:                             ;   Parent Loop BB6_2704 Depth=1
                                        ; =>  This Inner Loop Header: Depth=2
	s_wait_xcnt 0x0
	s_add_nc_u64 s[22:23], s[10:11], s[12:13]
	s_add_nc_u64 s[12:13], s[12:13], 1
	global_load_u8 v1, v5, s[22:23]
	s_cmp_lg_u32 s14, s12
	s_wait_loadcnt 0x0
	v_and_b32_e32 v4, 0xffff, v1
	s_delay_alu instid0(VALU_DEP_1) | instskip(SKIP_1) | instid1(VALU_DEP_1)
	v_lshlrev_b64_e32 v[18:19], s0, v[4:5]
	s_add_nc_u64 s[0:1], s[0:1], 8
	v_or_b32_e32 v16, v18, v16
	s_delay_alu instid0(VALU_DEP_2)
	v_or_b32_e32 v17, v19, v17
	s_cbranch_scc1 .LBB6_2728
.LBB6_2729:                             ;   in Loop: Header=BB6_2704 Depth=1
	s_wait_xcnt 0x0
	s_mov_b64 s[0:1], s[10:11]
	s_mov_b32 s15, 0
	s_cbranch_execz .LBB6_2731
	s_branch .LBB6_2732
.LBB6_2730:                             ;   in Loop: Header=BB6_2704 Depth=1
	s_wait_xcnt 0x0
	s_add_nc_u64 s[0:1], s[10:11], 8
                                        ; implicit-def: $vgpr16_vgpr17
	s_mov_b32 s15, 0
.LBB6_2731:                             ;   in Loop: Header=BB6_2704 Depth=1
	global_load_b64 v[16:17], v5, s[10:11]
	s_add_co_i32 s15, s14, -8
.LBB6_2732:                             ;   in Loop: Header=BB6_2704 Depth=1
	s_delay_alu instid0(SALU_CYCLE_1)
	s_cmp_gt_u32 s15, 7
	s_cbranch_scc1 .LBB6_2737
; %bb.2733:                             ;   in Loop: Header=BB6_2704 Depth=1
	v_mov_b64_e32 v[18:19], 0
	s_cmp_eq_u32 s15, 0
	s_cbranch_scc1 .LBB6_2736
; %bb.2734:                             ;   in Loop: Header=BB6_2704 Depth=1
	s_wait_xcnt 0x0
	s_mov_b64 s[10:11], 0
	s_mov_b64 s[12:13], 0
.LBB6_2735:                             ;   Parent Loop BB6_2704 Depth=1
                                        ; =>  This Inner Loop Header: Depth=2
	s_wait_xcnt 0x0
	s_add_nc_u64 s[22:23], s[0:1], s[12:13]
	s_add_nc_u64 s[12:13], s[12:13], 1
	global_load_u8 v1, v5, s[22:23]
	s_cmp_lg_u32 s15, s12
	s_wait_loadcnt 0x0
	v_and_b32_e32 v4, 0xffff, v1
	s_delay_alu instid0(VALU_DEP_1) | instskip(SKIP_1) | instid1(VALU_DEP_1)
	v_lshlrev_b64_e32 v[20:21], s10, v[4:5]
	s_add_nc_u64 s[10:11], s[10:11], 8
	v_or_b32_e32 v18, v20, v18
	s_delay_alu instid0(VALU_DEP_2)
	v_or_b32_e32 v19, v21, v19
	s_cbranch_scc1 .LBB6_2735
.LBB6_2736:                             ;   in Loop: Header=BB6_2704 Depth=1
	s_wait_xcnt 0x0
	s_mov_b64 s[10:11], s[0:1]
	s_mov_b32 s14, 0
	s_cbranch_execz .LBB6_2738
	s_branch .LBB6_2739
.LBB6_2737:                             ;   in Loop: Header=BB6_2704 Depth=1
	s_wait_xcnt 0x0
	s_add_nc_u64 s[10:11], s[0:1], 8
	s_mov_b32 s14, 0
.LBB6_2738:                             ;   in Loop: Header=BB6_2704 Depth=1
	global_load_b64 v[18:19], v5, s[0:1]
	s_add_co_i32 s14, s15, -8
.LBB6_2739:                             ;   in Loop: Header=BB6_2704 Depth=1
	s_delay_alu instid0(SALU_CYCLE_1)
	s_cmp_gt_u32 s14, 7
	s_cbranch_scc1 .LBB6_2744
; %bb.2740:                             ;   in Loop: Header=BB6_2704 Depth=1
	v_mov_b64_e32 v[20:21], 0
	s_cmp_eq_u32 s14, 0
	s_cbranch_scc1 .LBB6_2743
; %bb.2741:                             ;   in Loop: Header=BB6_2704 Depth=1
	s_wait_xcnt 0x0
	s_mov_b64 s[0:1], 0
	s_mov_b64 s[12:13], 0
.LBB6_2742:                             ;   Parent Loop BB6_2704 Depth=1
                                        ; =>  This Inner Loop Header: Depth=2
	s_wait_xcnt 0x0
	s_add_nc_u64 s[22:23], s[10:11], s[12:13]
	s_add_nc_u64 s[12:13], s[12:13], 1
	global_load_u8 v1, v5, s[22:23]
	s_cmp_lg_u32 s14, s12
	s_wait_loadcnt 0x0
	v_and_b32_e32 v4, 0xffff, v1
	s_delay_alu instid0(VALU_DEP_1) | instskip(SKIP_1) | instid1(VALU_DEP_1)
	v_lshlrev_b64_e32 v[22:23], s0, v[4:5]
	s_add_nc_u64 s[0:1], s[0:1], 8
	v_or_b32_e32 v20, v22, v20
	s_delay_alu instid0(VALU_DEP_2)
	v_or_b32_e32 v21, v23, v21
	s_cbranch_scc1 .LBB6_2742
.LBB6_2743:                             ;   in Loop: Header=BB6_2704 Depth=1
	s_wait_xcnt 0x0
	s_mov_b64 s[0:1], s[10:11]
	s_mov_b32 s15, 0
	s_cbranch_execz .LBB6_2745
	s_branch .LBB6_2746
.LBB6_2744:                             ;   in Loop: Header=BB6_2704 Depth=1
	s_wait_xcnt 0x0
	s_add_nc_u64 s[0:1], s[10:11], 8
                                        ; implicit-def: $vgpr20_vgpr21
	s_mov_b32 s15, 0
.LBB6_2745:                             ;   in Loop: Header=BB6_2704 Depth=1
	global_load_b64 v[20:21], v5, s[10:11]
	s_add_co_i32 s15, s14, -8
.LBB6_2746:                             ;   in Loop: Header=BB6_2704 Depth=1
	s_delay_alu instid0(SALU_CYCLE_1)
	s_cmp_gt_u32 s15, 7
	s_cbranch_scc1 .LBB6_2751
; %bb.2747:                             ;   in Loop: Header=BB6_2704 Depth=1
	v_mov_b64_e32 v[22:23], 0
	s_cmp_eq_u32 s15, 0
	s_cbranch_scc1 .LBB6_2750
; %bb.2748:                             ;   in Loop: Header=BB6_2704 Depth=1
	s_wait_xcnt 0x0
	s_mov_b64 s[10:11], 0
	s_mov_b64 s[12:13], s[0:1]
.LBB6_2749:                             ;   Parent Loop BB6_2704 Depth=1
                                        ; =>  This Inner Loop Header: Depth=2
	global_load_u8 v1, v5, s[12:13]
	s_add_co_i32 s15, s15, -1
	s_wait_xcnt 0x0
	s_add_nc_u64 s[12:13], s[12:13], 1
	s_cmp_lg_u32 s15, 0
	s_wait_loadcnt 0x0
	v_and_b32_e32 v4, 0xffff, v1
	s_delay_alu instid0(VALU_DEP_1) | instskip(SKIP_1) | instid1(VALU_DEP_1)
	v_lshlrev_b64_e32 v[24:25], s10, v[4:5]
	s_add_nc_u64 s[10:11], s[10:11], 8
	v_or_b32_e32 v22, v24, v22
	s_delay_alu instid0(VALU_DEP_2)
	v_or_b32_e32 v23, v25, v23
	s_cbranch_scc1 .LBB6_2749
.LBB6_2750:                             ;   in Loop: Header=BB6_2704 Depth=1
	s_wait_xcnt 0x0
	s_cbranch_execz .LBB6_2752
	s_branch .LBB6_2753
.LBB6_2751:                             ;   in Loop: Header=BB6_2704 Depth=1
	s_wait_xcnt 0x0
.LBB6_2752:                             ;   in Loop: Header=BB6_2704 Depth=1
	global_load_b64 v[22:23], v5, s[0:1]
.LBB6_2753:                             ;   in Loop: Header=BB6_2704 Depth=1
	s_wait_xcnt 0x0
	v_readfirstlane_b32 s0, v32
	v_mov_b64_e32 v[28:29], 0
	s_delay_alu instid0(VALU_DEP_2)
	v_cmp_eq_u32_e64 s0, s0, v32
	s_and_saveexec_b32 s1, s0
	s_cbranch_execz .LBB6_2759
; %bb.2754:                             ;   in Loop: Header=BB6_2704 Depth=1
	global_load_b64 v[26:27], v5, s[2:3] offset:24 scope:SCOPE_SYS
	s_wait_loadcnt 0x0
	global_inv scope:SCOPE_SYS
	s_clause 0x1
	global_load_b64 v[24:25], v5, s[2:3] offset:40
	global_load_b64 v[28:29], v5, s[2:3]
	s_mov_b32 s10, exec_lo
	s_wait_loadcnt 0x1
	v_and_b32_e32 v24, v24, v26
	v_and_b32_e32 v25, v25, v27
	s_delay_alu instid0(VALU_DEP_1) | instskip(SKIP_1) | instid1(VALU_DEP_1)
	v_mul_u64_e32 v[24:25], 24, v[24:25]
	s_wait_loadcnt 0x0
	v_add_nc_u64_e32 v[24:25], v[28:29], v[24:25]
	global_load_b64 v[24:25], v[24:25], off scope:SCOPE_SYS
	s_wait_xcnt 0x0
	s_wait_loadcnt 0x0
	global_atomic_cmpswap_b64 v[28:29], v5, v[24:27], s[2:3] offset:24 th:TH_ATOMIC_RETURN scope:SCOPE_SYS
	s_wait_loadcnt 0x0
	global_inv scope:SCOPE_SYS
	s_wait_xcnt 0x0
	v_cmpx_ne_u64_e64 v[28:29], v[26:27]
	s_cbranch_execz .LBB6_2758
; %bb.2755:                             ;   in Loop: Header=BB6_2704 Depth=1
	s_mov_b32 s11, 0
.LBB6_2756:                             ;   Parent Loop BB6_2704 Depth=1
                                        ; =>  This Inner Loop Header: Depth=2
	s_sleep 1
	s_clause 0x1
	global_load_b64 v[24:25], v5, s[2:3] offset:40
	global_load_b64 v[30:31], v5, s[2:3]
	v_mov_b64_e32 v[26:27], v[28:29]
	s_wait_loadcnt 0x1
	s_delay_alu instid0(VALU_DEP_1) | instskip(SKIP_1) | instid1(VALU_DEP_1)
	v_and_b32_e32 v1, v24, v26
	s_wait_loadcnt 0x0
	v_mad_nc_u64_u32 v[28:29], v1, 24, v[30:31]
	s_delay_alu instid0(VALU_DEP_3) | instskip(NEXT) | instid1(VALU_DEP_1)
	v_and_b32_e32 v1, v25, v27
	v_mad_u32 v29, v1, 24, v29
	global_load_b64 v[24:25], v[28:29], off scope:SCOPE_SYS
	s_wait_xcnt 0x0
	s_wait_loadcnt 0x0
	global_atomic_cmpswap_b64 v[28:29], v5, v[24:27], s[2:3] offset:24 th:TH_ATOMIC_RETURN scope:SCOPE_SYS
	s_wait_loadcnt 0x0
	global_inv scope:SCOPE_SYS
	v_cmp_eq_u64_e32 vcc_lo, v[28:29], v[26:27]
	s_or_b32 s11, vcc_lo, s11
	s_wait_xcnt 0x0
	s_and_not1_b32 exec_lo, exec_lo, s11
	s_cbranch_execnz .LBB6_2756
; %bb.2757:                             ;   in Loop: Header=BB6_2704 Depth=1
	s_or_b32 exec_lo, exec_lo, s11
.LBB6_2758:                             ;   in Loop: Header=BB6_2704 Depth=1
	s_delay_alu instid0(SALU_CYCLE_1)
	s_or_b32 exec_lo, exec_lo, s10
.LBB6_2759:                             ;   in Loop: Header=BB6_2704 Depth=1
	s_delay_alu instid0(SALU_CYCLE_1)
	s_or_b32 exec_lo, exec_lo, s1
	s_clause 0x1
	global_load_b64 v[30:31], v5, s[2:3] offset:40
	global_load_b128 v[24:27], v5, s[2:3]
	v_readfirstlane_b32 s10, v28
	v_readfirstlane_b32 s11, v29
	s_mov_b32 s1, exec_lo
	s_wait_loadcnt 0x1
	v_and_b32_e32 v30, s10, v30
	v_and_b32_e32 v31, s11, v31
	s_delay_alu instid0(VALU_DEP_1) | instskip(SKIP_1) | instid1(VALU_DEP_1)
	v_mul_u64_e32 v[28:29], 24, v[30:31]
	s_wait_loadcnt 0x0
	v_add_nc_u64_e32 v[28:29], v[24:25], v[28:29]
	s_wait_xcnt 0x0
	s_and_saveexec_b32 s12, s0
	s_cbranch_execz .LBB6_2761
; %bb.2760:                             ;   in Loop: Header=BB6_2704 Depth=1
	v_mov_b32_e32 v4, s1
	global_store_b128 v[28:29], v[4:7], off offset:8
.LBB6_2761:                             ;   in Loop: Header=BB6_2704 Depth=1
	s_wait_xcnt 0x0
	s_or_b32 exec_lo, exec_lo, s12
	v_cmp_gt_u64_e64 s1, s[6:7], 56
	v_lshlrev_b64_e32 v[30:31], 12, v[30:31]
	v_and_b32_e32 v1, 0xffffff1f, v8
	s_and_b32 s1, s1, exec_lo
	s_delay_alu instid0(VALU_DEP_2) | instskip(SKIP_4) | instid1(VALU_DEP_2)
	v_add_nc_u64_e32 v[26:27], v[26:27], v[30:31]
	s_cselect_b32 s1, 0, 2
	s_lshl_b32 s12, s8, 2
	v_or_b32_e32 v1, s1, v1
	s_add_co_i32 s1, s12, 28
	v_readfirstlane_b32 s12, v26
	s_delay_alu instid0(VALU_DEP_3) | instskip(NEXT) | instid1(VALU_DEP_3)
	v_readfirstlane_b32 s13, v27
	v_and_or_b32 v8, 0x1e0, s1, v1
	s_clause 0x3
	global_store_b128 v0, v[8:11], s[12:13]
	global_store_b128 v0, v[12:15], s[12:13] offset:16
	global_store_b128 v0, v[16:19], s[12:13] offset:32
	global_store_b128 v0, v[20:23], s[12:13] offset:48
	s_wait_xcnt 0x0
	s_and_saveexec_b32 s1, s0
	s_cbranch_execz .LBB6_2769
; %bb.2762:                             ;   in Loop: Header=BB6_2704 Depth=1
	s_clause 0x1
	global_load_b64 v[16:17], v5, s[2:3] offset:32 scope:SCOPE_SYS
	global_load_b64 v[8:9], v5, s[2:3] offset:40
	s_mov_b32 s12, exec_lo
	v_dual_mov_b32 v14, s10 :: v_dual_mov_b32 v15, s11
	s_wait_loadcnt 0x0
	v_and_b32_e32 v9, s11, v9
	v_and_b32_e32 v8, s10, v8
	s_delay_alu instid0(VALU_DEP_1) | instskip(NEXT) | instid1(VALU_DEP_1)
	v_mul_u64_e32 v[8:9], 24, v[8:9]
	v_add_nc_u64_e32 v[12:13], v[24:25], v[8:9]
	global_store_b64 v[12:13], v[16:17], off
	global_wb scope:SCOPE_SYS
	s_wait_storecnt 0x0
	s_wait_xcnt 0x0
	global_atomic_cmpswap_b64 v[10:11], v5, v[14:17], s[2:3] offset:32 th:TH_ATOMIC_RETURN scope:SCOPE_SYS
	s_wait_loadcnt 0x0
	v_cmpx_ne_u64_e64 v[10:11], v[16:17]
	s_cbranch_execz .LBB6_2765
; %bb.2763:                             ;   in Loop: Header=BB6_2704 Depth=1
	s_mov_b32 s13, 0
.LBB6_2764:                             ;   Parent Loop BB6_2704 Depth=1
                                        ; =>  This Inner Loop Header: Depth=2
	v_dual_mov_b32 v8, s10 :: v_dual_mov_b32 v9, s11
	s_sleep 1
	global_store_b64 v[12:13], v[10:11], off
	global_wb scope:SCOPE_SYS
	s_wait_storecnt 0x0
	s_wait_xcnt 0x0
	global_atomic_cmpswap_b64 v[8:9], v5, v[8:11], s[2:3] offset:32 th:TH_ATOMIC_RETURN scope:SCOPE_SYS
	s_wait_loadcnt 0x0
	v_cmp_eq_u64_e32 vcc_lo, v[8:9], v[10:11]
	v_mov_b64_e32 v[10:11], v[8:9]
	s_or_b32 s13, vcc_lo, s13
	s_delay_alu instid0(SALU_CYCLE_1)
	s_and_not1_b32 exec_lo, exec_lo, s13
	s_cbranch_execnz .LBB6_2764
.LBB6_2765:                             ;   in Loop: Header=BB6_2704 Depth=1
	s_or_b32 exec_lo, exec_lo, s12
	global_load_b64 v[8:9], v5, s[2:3] offset:16
	s_mov_b32 s13, exec_lo
	s_mov_b32 s12, exec_lo
	v_mbcnt_lo_u32_b32 v1, s13, 0
	s_wait_xcnt 0x0
	s_delay_alu instid0(VALU_DEP_1)
	v_cmpx_eq_u32_e32 0, v1
	s_cbranch_execz .LBB6_2767
; %bb.2766:                             ;   in Loop: Header=BB6_2704 Depth=1
	s_bcnt1_i32_b32 s13, s13
	s_delay_alu instid0(SALU_CYCLE_1)
	v_mov_b32_e32 v4, s13
	global_wb scope:SCOPE_SYS
	s_wait_loadcnt 0x0
	s_wait_storecnt 0x0
	global_atomic_add_u64 v[8:9], v[4:5], off offset:8 scope:SCOPE_SYS
.LBB6_2767:                             ;   in Loop: Header=BB6_2704 Depth=1
	s_wait_xcnt 0x0
	s_or_b32 exec_lo, exec_lo, s12
	s_wait_loadcnt 0x0
	global_load_b64 v[10:11], v[8:9], off offset:16
	s_wait_loadcnt 0x0
	v_cmp_eq_u64_e32 vcc_lo, 0, v[10:11]
	s_cbranch_vccnz .LBB6_2769
; %bb.2768:                             ;   in Loop: Header=BB6_2704 Depth=1
	global_load_b32 v4, v[8:9], off offset:24
	s_wait_loadcnt 0x0
	v_readfirstlane_b32 s12, v4
	global_wb scope:SCOPE_SYS
	s_wait_storecnt 0x0
	s_wait_xcnt 0x0
	global_store_b64 v[10:11], v[4:5], off scope:SCOPE_SYS
	s_and_b32 m0, s12, 0xffffff
	s_sendmsg sendmsg(MSG_INTERRUPT)
.LBB6_2769:                             ;   in Loop: Header=BB6_2704 Depth=1
	s_wait_xcnt 0x0
	s_or_b32 exec_lo, exec_lo, s1
	v_mov_b32_e32 v1, v5
	s_delay_alu instid0(VALU_DEP_1)
	v_add_nc_u64_e32 v[8:9], v[26:27], v[0:1]
	s_branch .LBB6_2773
.LBB6_2770:                             ;   in Loop: Header=BB6_2773 Depth=2
	s_wait_xcnt 0x0
	s_or_b32 exec_lo, exec_lo, s1
	s_delay_alu instid0(VALU_DEP_1)
	v_readfirstlane_b32 s1, v1
	s_cmp_eq_u32 s1, 0
	s_cbranch_scc1 .LBB6_2772
; %bb.2771:                             ;   in Loop: Header=BB6_2773 Depth=2
	s_sleep 1
	s_cbranch_execnz .LBB6_2773
	s_branch .LBB6_2775
.LBB6_2772:                             ;   in Loop: Header=BB6_2704 Depth=1
	s_branch .LBB6_2775
.LBB6_2773:                             ;   Parent Loop BB6_2704 Depth=1
                                        ; =>  This Inner Loop Header: Depth=2
	v_mov_b32_e32 v1, 1
	s_and_saveexec_b32 s1, s0
	s_cbranch_execz .LBB6_2770
; %bb.2774:                             ;   in Loop: Header=BB6_2773 Depth=2
	global_load_b32 v1, v[28:29], off offset:20 scope:SCOPE_SYS
	s_wait_loadcnt 0x0
	global_inv scope:SCOPE_SYS
	v_and_b32_e32 v1, 1, v1
	s_branch .LBB6_2770
.LBB6_2775:                             ;   in Loop: Header=BB6_2704 Depth=1
	global_load_b128 v[8:11], v[8:9], off
	s_wait_xcnt 0x0
	s_and_saveexec_b32 s12, s0
	s_cbranch_execz .LBB6_2703
; %bb.2776:                             ;   in Loop: Header=BB6_2704 Depth=1
	s_wait_loadcnt 0x0
	s_clause 0x2
	global_load_b64 v[10:11], v5, s[2:3] offset:40
	global_load_b64 v[18:19], v5, s[2:3] offset:24 scope:SCOPE_SYS
	global_load_b64 v[12:13], v5, s[2:3]
	s_wait_loadcnt 0x2
	v_readfirstlane_b32 s14, v10
	v_readfirstlane_b32 s15, v11
	s_add_nc_u64 s[0:1], s[14:15], 1
	s_delay_alu instid0(SALU_CYCLE_1) | instskip(NEXT) | instid1(SALU_CYCLE_1)
	s_add_nc_u64 s[10:11], s[0:1], s[10:11]
	s_cmp_eq_u64 s[10:11], 0
	s_cselect_b32 s1, s1, s11
	s_cselect_b32 s0, s0, s10
	s_delay_alu instid0(SALU_CYCLE_1) | instskip(SKIP_1) | instid1(SALU_CYCLE_1)
	v_dual_mov_b32 v17, s1 :: v_dual_mov_b32 v16, s0
	s_and_b64 s[10:11], s[0:1], s[14:15]
	s_mul_u64 s[10:11], s[10:11], 24
	s_wait_loadcnt 0x0
	v_add_nc_u64_e32 v[14:15], s[10:11], v[12:13]
	global_store_b64 v[14:15], v[18:19], off
	global_wb scope:SCOPE_SYS
	s_wait_storecnt 0x0
	s_wait_xcnt 0x0
	global_atomic_cmpswap_b64 v[12:13], v5, v[16:19], s[2:3] offset:24 th:TH_ATOMIC_RETURN scope:SCOPE_SYS
	s_wait_loadcnt 0x0
	v_cmp_ne_u64_e32 vcc_lo, v[12:13], v[18:19]
	s_and_b32 exec_lo, exec_lo, vcc_lo
	s_cbranch_execz .LBB6_2703
; %bb.2777:                             ;   in Loop: Header=BB6_2704 Depth=1
	s_mov_b32 s10, 0
.LBB6_2778:                             ;   Parent Loop BB6_2704 Depth=1
                                        ; =>  This Inner Loop Header: Depth=2
	v_dual_mov_b32 v10, s0 :: v_dual_mov_b32 v11, s1
	s_sleep 1
	global_store_b64 v[14:15], v[12:13], off
	global_wb scope:SCOPE_SYS
	s_wait_storecnt 0x0
	s_wait_xcnt 0x0
	global_atomic_cmpswap_b64 v[10:11], v5, v[10:13], s[2:3] offset:24 th:TH_ATOMIC_RETURN scope:SCOPE_SYS
	s_wait_loadcnt 0x0
	v_cmp_eq_u64_e32 vcc_lo, v[10:11], v[12:13]
	v_mov_b64_e32 v[12:13], v[10:11]
	s_or_b32 s10, vcc_lo, s10
	s_delay_alu instid0(SALU_CYCLE_1)
	s_and_not1_b32 exec_lo, exec_lo, s10
	s_cbranch_execnz .LBB6_2778
	s_branch .LBB6_2703
.LBB6_2779:
	s_mov_b32 s0, 0
	s_branch .LBB6_2781
.LBB6_2780:
	s_mov_b32 s0, -1
.LBB6_2781:
	s_delay_alu instid0(SALU_CYCLE_1)
	s_and_b32 vcc_lo, exec_lo, s0
	s_cbranch_vccz .LBB6_2809
; %bb.2782:
	v_readfirstlane_b32 s0, v32
	s_wait_loadcnt 0x0
	v_mov_b64_e32 v[10:11], 0
	s_delay_alu instid0(VALU_DEP_2)
	v_cmp_eq_u32_e64 s0, s0, v32
	s_and_saveexec_b32 s1, s0
	s_cbranch_execz .LBB6_2788
; %bb.2783:
	v_mov_b32_e32 v1, 0
	s_mov_b32 s4, exec_lo
	global_load_b64 v[6:7], v1, s[2:3] offset:24 scope:SCOPE_SYS
	s_wait_loadcnt 0x0
	global_inv scope:SCOPE_SYS
	s_clause 0x1
	global_load_b64 v[4:5], v1, s[2:3] offset:40
	global_load_b64 v[8:9], v1, s[2:3]
	s_wait_loadcnt 0x1
	v_and_b32_e32 v4, v4, v6
	v_and_b32_e32 v5, v5, v7
	s_delay_alu instid0(VALU_DEP_1) | instskip(SKIP_1) | instid1(VALU_DEP_1)
	v_mul_u64_e32 v[4:5], 24, v[4:5]
	s_wait_loadcnt 0x0
	v_add_nc_u64_e32 v[4:5], v[8:9], v[4:5]
	global_load_b64 v[4:5], v[4:5], off scope:SCOPE_SYS
	s_wait_xcnt 0x0
	s_wait_loadcnt 0x0
	global_atomic_cmpswap_b64 v[10:11], v1, v[4:7], s[2:3] offset:24 th:TH_ATOMIC_RETURN scope:SCOPE_SYS
	s_wait_loadcnt 0x0
	global_inv scope:SCOPE_SYS
	s_wait_xcnt 0x0
	v_cmpx_ne_u64_e64 v[10:11], v[6:7]
	s_cbranch_execz .LBB6_2787
; %bb.2784:
	s_mov_b32 s5, 0
.LBB6_2785:                             ; =>This Inner Loop Header: Depth=1
	s_sleep 1
	s_clause 0x1
	global_load_b64 v[4:5], v1, s[2:3] offset:40
	global_load_b64 v[8:9], v1, s[2:3]
	v_mov_b64_e32 v[6:7], v[10:11]
	s_wait_loadcnt 0x1
	s_delay_alu instid0(VALU_DEP_1) | instskip(SKIP_1) | instid1(VALU_DEP_1)
	v_and_b32_e32 v4, v4, v6
	s_wait_loadcnt 0x0
	v_mad_nc_u64_u32 v[8:9], v4, 24, v[8:9]
	s_delay_alu instid0(VALU_DEP_3) | instskip(NEXT) | instid1(VALU_DEP_1)
	v_and_b32_e32 v4, v5, v7
	v_mad_u32 v9, v4, 24, v9
	global_load_b64 v[4:5], v[8:9], off scope:SCOPE_SYS
	s_wait_xcnt 0x0
	s_wait_loadcnt 0x0
	global_atomic_cmpswap_b64 v[10:11], v1, v[4:7], s[2:3] offset:24 th:TH_ATOMIC_RETURN scope:SCOPE_SYS
	s_wait_loadcnt 0x0
	global_inv scope:SCOPE_SYS
	v_cmp_eq_u64_e32 vcc_lo, v[10:11], v[6:7]
	s_or_b32 s5, vcc_lo, s5
	s_wait_xcnt 0x0
	s_and_not1_b32 exec_lo, exec_lo, s5
	s_cbranch_execnz .LBB6_2785
; %bb.2786:
	s_or_b32 exec_lo, exec_lo, s5
.LBB6_2787:
	s_delay_alu instid0(SALU_CYCLE_1)
	s_or_b32 exec_lo, exec_lo, s4
.LBB6_2788:
	s_delay_alu instid0(SALU_CYCLE_1)
	s_or_b32 exec_lo, exec_lo, s1
	v_readfirstlane_b32 s4, v10
	v_mov_b32_e32 v4, 0
	v_readfirstlane_b32 s5, v11
	s_mov_b32 s1, exec_lo
	s_clause 0x1
	global_load_b64 v[12:13], v4, s[2:3] offset:40
	global_load_b128 v[6:9], v4, s[2:3]
	s_wait_loadcnt 0x1
	v_and_b32_e32 v12, s4, v12
	v_and_b32_e32 v13, s5, v13
	s_delay_alu instid0(VALU_DEP_1) | instskip(SKIP_1) | instid1(VALU_DEP_1)
	v_mul_u64_e32 v[10:11], 24, v[12:13]
	s_wait_loadcnt 0x0
	v_add_nc_u64_e32 v[10:11], v[6:7], v[10:11]
	s_wait_xcnt 0x0
	s_and_saveexec_b32 s6, s0
	s_cbranch_execz .LBB6_2790
; %bb.2789:
	v_mov_b64_e32 v[16:17], 0x100000002
	v_dual_mov_b32 v14, s1 :: v_dual_mov_b32 v15, v4
	global_store_b128 v[10:11], v[14:17], off offset:8
.LBB6_2790:
	s_wait_xcnt 0x0
	s_or_b32 exec_lo, exec_lo, s6
	v_lshlrev_b64_e32 v[12:13], 12, v[12:13]
	s_mov_b32 s8, 0
	v_and_or_b32 v2, 0xffffff1d, v2, 34
	s_mov_b32 s10, s8
	s_mov_b32 s11, s8
	;; [unrolled: 1-line block ×3, first 2 shown]
	v_mov_b32_e32 v5, v4
	v_add_nc_u64_e32 v[8:9], v[8:9], v[12:13]
	v_mov_b64_e32 v[14:15], s[10:11]
	v_mov_b64_e32 v[12:13], s[8:9]
	s_delay_alu instid0(VALU_DEP_3) | instskip(NEXT) | instid1(VALU_DEP_4)
	v_readfirstlane_b32 s6, v8
	v_readfirstlane_b32 s7, v9
	s_clause 0x3
	global_store_b128 v0, v[2:5], s[6:7]
	global_store_b128 v0, v[12:15], s[6:7] offset:16
	global_store_b128 v0, v[12:15], s[6:7] offset:32
	;; [unrolled: 1-line block ×3, first 2 shown]
	s_wait_xcnt 0x0
	s_and_saveexec_b32 s1, s0
	s_cbranch_execz .LBB6_2798
; %bb.2791:
	v_dual_mov_b32 v8, 0 :: v_dual_mov_b32 v13, s5
	s_mov_b32 s6, exec_lo
	s_clause 0x1
	global_load_b64 v[14:15], v8, s[2:3] offset:32 scope:SCOPE_SYS
	global_load_b64 v[0:1], v8, s[2:3] offset:40
	s_wait_loadcnt 0x0
	v_dual_mov_b32 v12, s4 :: v_dual_bitop2_b32 v1, s5, v1 bitop3:0x40
	v_and_b32_e32 v0, s4, v0
	s_delay_alu instid0(VALU_DEP_1) | instskip(NEXT) | instid1(VALU_DEP_1)
	v_mul_u64_e32 v[0:1], 24, v[0:1]
	v_add_nc_u64_e32 v[4:5], v[6:7], v[0:1]
	global_store_b64 v[4:5], v[14:15], off
	global_wb scope:SCOPE_SYS
	s_wait_storecnt 0x0
	s_wait_xcnt 0x0
	global_atomic_cmpswap_b64 v[2:3], v8, v[12:15], s[2:3] offset:32 th:TH_ATOMIC_RETURN scope:SCOPE_SYS
	s_wait_loadcnt 0x0
	v_cmpx_ne_u64_e64 v[2:3], v[14:15]
	s_cbranch_execz .LBB6_2794
; %bb.2792:
	s_mov_b32 s7, 0
.LBB6_2793:                             ; =>This Inner Loop Header: Depth=1
	v_dual_mov_b32 v0, s4 :: v_dual_mov_b32 v1, s5
	s_sleep 1
	global_store_b64 v[4:5], v[2:3], off
	global_wb scope:SCOPE_SYS
	s_wait_storecnt 0x0
	s_wait_xcnt 0x0
	global_atomic_cmpswap_b64 v[0:1], v8, v[0:3], s[2:3] offset:32 th:TH_ATOMIC_RETURN scope:SCOPE_SYS
	s_wait_loadcnt 0x0
	v_cmp_eq_u64_e32 vcc_lo, v[0:1], v[2:3]
	v_mov_b64_e32 v[2:3], v[0:1]
	s_or_b32 s7, vcc_lo, s7
	s_delay_alu instid0(SALU_CYCLE_1)
	s_and_not1_b32 exec_lo, exec_lo, s7
	s_cbranch_execnz .LBB6_2793
.LBB6_2794:
	s_or_b32 exec_lo, exec_lo, s6
	v_mov_b32_e32 v3, 0
	s_mov_b32 s7, exec_lo
	s_mov_b32 s6, exec_lo
	v_mbcnt_lo_u32_b32 v2, s7, 0
	global_load_b64 v[0:1], v3, s[2:3] offset:16
	s_wait_xcnt 0x0
	v_cmpx_eq_u32_e32 0, v2
	s_cbranch_execz .LBB6_2796
; %bb.2795:
	s_bcnt1_i32_b32 s7, s7
	s_delay_alu instid0(SALU_CYCLE_1)
	v_mov_b32_e32 v2, s7
	global_wb scope:SCOPE_SYS
	s_wait_loadcnt 0x0
	s_wait_storecnt 0x0
	global_atomic_add_u64 v[0:1], v[2:3], off offset:8 scope:SCOPE_SYS
.LBB6_2796:
	s_wait_xcnt 0x0
	s_or_b32 exec_lo, exec_lo, s6
	s_wait_loadcnt 0x0
	global_load_b64 v[2:3], v[0:1], off offset:16
	s_wait_loadcnt 0x0
	v_cmp_eq_u64_e32 vcc_lo, 0, v[2:3]
	s_cbranch_vccnz .LBB6_2798
; %bb.2797:
	global_load_b32 v0, v[0:1], off offset:24
	s_wait_xcnt 0x0
	v_mov_b32_e32 v1, 0
	s_wait_loadcnt 0x0
	v_readfirstlane_b32 s6, v0
	global_wb scope:SCOPE_SYS
	s_wait_storecnt 0x0
	global_store_b64 v[2:3], v[0:1], off scope:SCOPE_SYS
	s_and_b32 m0, s6, 0xffffff
	s_sendmsg sendmsg(MSG_INTERRUPT)
.LBB6_2798:
	s_wait_xcnt 0x0
	s_or_b32 exec_lo, exec_lo, s1
	s_branch .LBB6_2802
.LBB6_2799:                             ;   in Loop: Header=BB6_2802 Depth=1
	s_wait_xcnt 0x0
	s_or_b32 exec_lo, exec_lo, s1
	s_delay_alu instid0(VALU_DEP_1)
	v_readfirstlane_b32 s1, v0
	s_cmp_eq_u32 s1, 0
	s_cbranch_scc1 .LBB6_2801
; %bb.2800:                             ;   in Loop: Header=BB6_2802 Depth=1
	s_sleep 1
	s_cbranch_execnz .LBB6_2802
	s_branch .LBB6_2804
.LBB6_2801:
	s_branch .LBB6_2804
.LBB6_2802:                             ; =>This Inner Loop Header: Depth=1
	v_mov_b32_e32 v0, 1
	s_and_saveexec_b32 s1, s0
	s_cbranch_execz .LBB6_2799
; %bb.2803:                             ;   in Loop: Header=BB6_2802 Depth=1
	global_load_b32 v0, v[10:11], off offset:20 scope:SCOPE_SYS
	s_wait_loadcnt 0x0
	global_inv scope:SCOPE_SYS
	v_and_b32_e32 v0, 1, v0
	s_branch .LBB6_2799
.LBB6_2804:
	s_and_saveexec_b32 s6, s0
	s_cbranch_execz .LBB6_2808
; %bb.2805:
	v_mov_b32_e32 v6, 0
	s_clause 0x2
	global_load_b64 v[0:1], v6, s[2:3] offset:40
	global_load_b64 v[10:11], v6, s[2:3] offset:24 scope:SCOPE_SYS
	global_load_b64 v[2:3], v6, s[2:3]
	s_wait_loadcnt 0x2
	v_readfirstlane_b32 s8, v0
	v_readfirstlane_b32 s9, v1
	s_add_nc_u64 s[0:1], s[8:9], 1
	s_delay_alu instid0(SALU_CYCLE_1) | instskip(NEXT) | instid1(SALU_CYCLE_1)
	s_add_nc_u64 s[4:5], s[0:1], s[4:5]
	s_cmp_eq_u64 s[4:5], 0
	s_cselect_b32 s1, s1, s5
	s_cselect_b32 s0, s0, s4
	v_mov_b32_e32 v9, s1
	s_and_b64 s[4:5], s[0:1], s[8:9]
	v_mov_b32_e32 v8, s0
	s_mul_u64 s[4:5], s[4:5], 24
	s_wait_loadcnt 0x0
	v_add_nc_u64_e32 v[4:5], s[4:5], v[2:3]
	global_store_b64 v[4:5], v[10:11], off
	global_wb scope:SCOPE_SYS
	s_wait_storecnt 0x0
	s_wait_xcnt 0x0
	global_atomic_cmpswap_b64 v[2:3], v6, v[8:11], s[2:3] offset:24 th:TH_ATOMIC_RETURN scope:SCOPE_SYS
	s_wait_loadcnt 0x0
	v_cmp_ne_u64_e32 vcc_lo, v[2:3], v[10:11]
	s_and_b32 exec_lo, exec_lo, vcc_lo
	s_cbranch_execz .LBB6_2808
; %bb.2806:
	s_mov_b32 s4, 0
.LBB6_2807:                             ; =>This Inner Loop Header: Depth=1
	v_dual_mov_b32 v0, s0 :: v_dual_mov_b32 v1, s1
	s_sleep 1
	global_store_b64 v[4:5], v[2:3], off
	global_wb scope:SCOPE_SYS
	s_wait_storecnt 0x0
	s_wait_xcnt 0x0
	global_atomic_cmpswap_b64 v[0:1], v6, v[0:3], s[2:3] offset:24 th:TH_ATOMIC_RETURN scope:SCOPE_SYS
	s_wait_loadcnt 0x0
	v_cmp_eq_u64_e32 vcc_lo, v[0:1], v[2:3]
	v_mov_b64_e32 v[2:3], v[0:1]
	s_or_b32 s4, vcc_lo, s4
	s_delay_alu instid0(SALU_CYCLE_1)
	s_and_not1_b32 exec_lo, exec_lo, s4
	s_cbranch_execnz .LBB6_2807
.LBB6_2808:
	s_or_b32 exec_lo, exec_lo, s6
.LBB6_2809:
	s_get_pc_i64 s[0:1]
	s_add_nc_u64 s[0:1], s[0:1], .str.29@rel64+4
	s_get_pc_i64 s[2:3]
	s_add_nc_u64 s[2:3], s[2:3], .str.19@rel64+4
	s_get_pc_i64 s[4:5]
	s_add_nc_u64 s[4:5], s[4:5], __PRETTY_FUNCTION__._ZN7VecsMemIjLi8192EE5fetchEi@rel64+4
	v_dual_mov_b32 v0, s0 :: v_dual_mov_b32 v1, s1
	s_wait_loadcnt 0x0
	v_dual_mov_b32 v2, s2 :: v_dual_mov_b32 v3, s3
	v_dual_mov_b32 v4, 12 :: v_dual_mov_b32 v5, s4
	v_mov_b32_e32 v6, s5
	s_get_pc_i64 s[6:7]
	s_add_nc_u64 s[6:7], s[6:7], __assert_fail@rel64+4
	s_mov_b64 s[8:9], s[52:53]
	s_swap_pc_i64 s[30:31], s[6:7]
	s_or_b32 s18, s18, exec_lo
.LBB6_2810:
	s_or_b32 exec_lo, exec_lo, s17
	s_delay_alu instid0(SALU_CYCLE_1) | instskip(SKIP_1) | instid1(SALU_CYCLE_1)
	s_and_not1_b32 s0, s64, exec_lo
	s_and_b32 s1, s18, exec_lo
	s_or_b32 s17, s0, s1
.LBB6_2811:
	s_and_not1_saveexec_b32 s18, s21
	s_cbranch_execz .LBB6_2813
; %bb.2812:
	s_get_pc_i64 s[0:1]
	s_add_nc_u64 s[0:1], s[0:1], .str.38@rel64+4
	s_get_pc_i64 s[2:3]
	s_add_nc_u64 s[2:3], s[2:3], .str.31@rel64+4
	s_get_pc_i64 s[4:5]
	s_add_nc_u64 s[4:5], s[4:5], __PRETTY_FUNCTION__._ZN3sop17sopDivideInternalEPNS_3SopES1_S1_S1_P7VecsMemIjLi8192EE@rel64+4
	v_dual_mov_b32 v0, s0 :: v_dual_mov_b32 v1, s1
	v_dual_mov_b32 v2, s2 :: v_dual_mov_b32 v3, s3
	;; [unrolled: 1-line block ×3, first 2 shown]
	v_mov_b32_e32 v6, s5
	s_get_pc_i64 s[6:7]
	s_add_nc_u64 s[6:7], s[6:7], __assert_fail@rel64+4
	s_mov_b64 s[8:9], s[52:53]
	s_swap_pc_i64 s[30:31], s[6:7]
	s_or_b32 s17, s17, exec_lo
.LBB6_2813:
	s_or_b32 exec_lo, exec_lo, s18
	s_delay_alu instid0(SALU_CYCLE_1) | instskip(SKIP_1) | instid1(SALU_CYCLE_1)
	s_and_not1_b32 s0, s64, exec_lo
	s_and_b32 s1, s17, exec_lo
                                        ; implicit-def: $vgpr64_vgpr65
                                        ; implicit-def: $vgpr42_vgpr43
                                        ; implicit-def: $vgpr41
	s_or_b32 s67, s0, s1
.LBB6_2814:
	s_and_not1_saveexec_b32 s68, s20
	s_cbranch_execz .LBB6_2816
; %bb.2815:
	flat_load_b96 v[2:4], v[64:65] offset:4
	v_mov_b32_e32 v5, v43
	s_get_pc_i64 s[0:1]
	s_add_nc_u64 s[0:1], s[0:1], _ZN3sop19sopFactorTrivialRecEPjiiPN8subgUtil4SubgILi256EEE@rel64+4
	s_mov_b64 s[8:9], s[52:53]
	s_wait_loadcnt_dscnt 0x0
	v_dual_mov_b32 v0, v3 :: v_dual_mov_b32 v1, v4
	v_dual_mov_b32 v3, v41 :: v_dual_mov_b32 v4, v42
	s_swap_pc_i64 s[30:31], s[0:1]
	s_delay_alu instid0(VALU_DEP_2)
	v_mov_b32_e32 v44, v0
.LBB6_2816:
	s_wait_xcnt 0x0
	s_or_b32 exec_lo, exec_lo, s68
	s_delay_alu instid0(SALU_CYCLE_1) | instskip(SKIP_1) | instid1(SALU_CYCLE_1)
	s_and_not1_b32 s0, s64, exec_lo
	s_and_b32 s1, s67, exec_lo
	s_or_b32 s64, s0, s1
.LBB6_2817:
	s_or_b32 exec_lo, exec_lo, s66
	s_and_saveexec_b32 s0, s65
	s_delay_alu instid0(SALU_CYCLE_1)
	s_xor_b32 s17, exec_lo, s0
	s_cbranch_execz .LBB6_2952
; %bb.2818:
	s_load_b64 s[2:3], s[52:53], 0x50
	v_mbcnt_lo_u32_b32 v32, -1, 0
	v_mov_b64_e32 v[2:3], 0
	s_delay_alu instid0(VALU_DEP_2) | instskip(NEXT) | instid1(VALU_DEP_1)
	v_readfirstlane_b32 s0, v32
	v_cmp_eq_u32_e64 s0, s0, v32
	s_and_saveexec_b32 s1, s0
	s_cbranch_execz .LBB6_2824
; %bb.2819:
	v_mov_b32_e32 v0, 0
	s_mov_b32 s4, exec_lo
	s_wait_kmcnt 0x0
	global_load_b64 v[4:5], v0, s[2:3] offset:24 scope:SCOPE_SYS
	s_wait_loadcnt 0x0
	global_inv scope:SCOPE_SYS
	s_clause 0x1
	global_load_b64 v[2:3], v0, s[2:3] offset:40
	global_load_b64 v[6:7], v0, s[2:3]
	s_wait_loadcnt 0x1
	v_and_b32_e32 v2, v2, v4
	v_and_b32_e32 v3, v3, v5
	s_delay_alu instid0(VALU_DEP_1) | instskip(SKIP_1) | instid1(VALU_DEP_1)
	v_mul_u64_e32 v[2:3], 24, v[2:3]
	s_wait_loadcnt 0x0
	v_add_nc_u64_e32 v[2:3], v[6:7], v[2:3]
	global_load_b64 v[2:3], v[2:3], off scope:SCOPE_SYS
	s_wait_xcnt 0x0
	s_wait_loadcnt 0x0
	global_atomic_cmpswap_b64 v[2:3], v0, v[2:5], s[2:3] offset:24 th:TH_ATOMIC_RETURN scope:SCOPE_SYS
	s_wait_loadcnt 0x0
	global_inv scope:SCOPE_SYS
	s_wait_xcnt 0x0
	v_cmpx_ne_u64_e64 v[2:3], v[4:5]
	s_cbranch_execz .LBB6_2823
; %bb.2820:
	s_mov_b32 s5, 0
.LBB6_2821:                             ; =>This Inner Loop Header: Depth=1
	s_sleep 1
	s_clause 0x1
	global_load_b64 v[6:7], v0, s[2:3] offset:40
	global_load_b64 v[8:9], v0, s[2:3]
	v_mov_b64_e32 v[4:5], v[2:3]
	s_wait_loadcnt 0x1
	s_delay_alu instid0(VALU_DEP_1) | instskip(SKIP_1) | instid1(VALU_DEP_1)
	v_and_b32_e32 v1, v6, v4
	s_wait_loadcnt 0x0
	v_mad_nc_u64_u32 v[2:3], v1, 24, v[8:9]
	s_delay_alu instid0(VALU_DEP_3) | instskip(NEXT) | instid1(VALU_DEP_1)
	v_and_b32_e32 v1, v7, v5
	v_mad_u32 v3, v1, 24, v3
	global_load_b64 v[2:3], v[2:3], off scope:SCOPE_SYS
	s_wait_xcnt 0x0
	s_wait_loadcnt 0x0
	global_atomic_cmpswap_b64 v[2:3], v0, v[2:5], s[2:3] offset:24 th:TH_ATOMIC_RETURN scope:SCOPE_SYS
	s_wait_loadcnt 0x0
	global_inv scope:SCOPE_SYS
	v_cmp_eq_u64_e32 vcc_lo, v[2:3], v[4:5]
	s_or_b32 s5, vcc_lo, s5
	s_wait_xcnt 0x0
	s_and_not1_b32 exec_lo, exec_lo, s5
	s_cbranch_execnz .LBB6_2821
; %bb.2822:
	s_or_b32 exec_lo, exec_lo, s5
.LBB6_2823:
	s_delay_alu instid0(SALU_CYCLE_1)
	s_or_b32 exec_lo, exec_lo, s4
.LBB6_2824:
	s_delay_alu instid0(SALU_CYCLE_1)
	s_or_b32 exec_lo, exec_lo, s1
	v_readfirstlane_b32 s4, v2
	v_mov_b32_e32 v1, 0
	v_readfirstlane_b32 s5, v3
	s_mov_b32 s1, exec_lo
	s_wait_kmcnt 0x0
	s_clause 0x1
	global_load_b64 v[8:9], v1, s[2:3] offset:40
	global_load_b128 v[4:7], v1, s[2:3]
	s_wait_loadcnt 0x1
	v_and_b32_e32 v10, s4, v8
	v_and_b32_e32 v11, s5, v9
	s_delay_alu instid0(VALU_DEP_1) | instskip(SKIP_1) | instid1(VALU_DEP_1)
	v_mul_u64_e32 v[2:3], 24, v[10:11]
	s_wait_loadcnt 0x0
	v_add_nc_u64_e32 v[8:9], v[4:5], v[2:3]
	s_wait_xcnt 0x0
	s_and_saveexec_b32 s6, s0
	s_cbranch_execz .LBB6_2826
; %bb.2825:
	v_mov_b64_e32 v[2:3], 0x100000002
	v_mov_b32_e32 v0, s1
	global_store_b128 v[8:9], v[0:3], off offset:8
.LBB6_2826:
	s_wait_xcnt 0x0
	s_or_b32 exec_lo, exec_lo, s6
	v_lshlrev_b64_e32 v[2:3], 12, v[10:11]
	s_mov_b32 s8, 0
	v_dual_lshlrev_b32 v0, 6, v32 :: v_dual_mov_b32 v10, 33
	s_mov_b32 s10, s8
	s_mov_b32 s11, s8
	;; [unrolled: 1-line block ×3, first 2 shown]
	s_delay_alu instid0(VALU_DEP_2)
	v_add_nc_u64_e32 v[6:7], v[6:7], v[2:3]
	v_mov_b64_e32 v[16:17], s[10:11]
	v_mov_b64_e32 v[14:15], s[8:9]
	s_wait_dscnt 0x1
	v_dual_mov_b32 v11, v1 :: v_dual_mov_b32 v12, v1
	v_mov_b32_e32 v13, v1
	v_readfirstlane_b32 s6, v6
	v_readfirstlane_b32 s7, v7
	s_clause 0x3
	global_store_b128 v0, v[10:13], s[6:7]
	global_store_b128 v0, v[14:17], s[6:7] offset:16
	global_store_b128 v0, v[14:17], s[6:7] offset:32
	global_store_b128 v0, v[14:17], s[6:7] offset:48
	s_wait_xcnt 0x0
	s_and_saveexec_b32 s1, s0
	s_cbranch_execz .LBB6_2834
; %bb.2827:
	v_dual_mov_b32 v12, 0 :: v_dual_mov_b32 v15, s5
	s_mov_b32 s6, exec_lo
	s_clause 0x1
	global_load_b64 v[16:17], v12, s[2:3] offset:32 scope:SCOPE_SYS
	global_load_b64 v[2:3], v12, s[2:3] offset:40
	s_wait_loadcnt 0x0
	v_dual_mov_b32 v14, s4 :: v_dual_bitop2_b32 v3, s5, v3 bitop3:0x40
	v_and_b32_e32 v2, s4, v2
	s_delay_alu instid0(VALU_DEP_1) | instskip(NEXT) | instid1(VALU_DEP_1)
	v_mul_u64_e32 v[2:3], 24, v[2:3]
	v_add_nc_u64_e32 v[10:11], v[4:5], v[2:3]
	global_store_b64 v[10:11], v[16:17], off
	global_wb scope:SCOPE_SYS
	s_wait_storecnt 0x0
	s_wait_xcnt 0x0
	global_atomic_cmpswap_b64 v[4:5], v12, v[14:17], s[2:3] offset:32 th:TH_ATOMIC_RETURN scope:SCOPE_SYS
	s_wait_loadcnt 0x0
	v_cmpx_ne_u64_e64 v[4:5], v[16:17]
	s_cbranch_execz .LBB6_2830
; %bb.2828:
	s_mov_b32 s7, 0
.LBB6_2829:                             ; =>This Inner Loop Header: Depth=1
	v_dual_mov_b32 v2, s4 :: v_dual_mov_b32 v3, s5
	s_sleep 1
	global_store_b64 v[10:11], v[4:5], off
	global_wb scope:SCOPE_SYS
	s_wait_storecnt 0x0
	s_wait_xcnt 0x0
	global_atomic_cmpswap_b64 v[2:3], v12, v[2:5], s[2:3] offset:32 th:TH_ATOMIC_RETURN scope:SCOPE_SYS
	s_wait_loadcnt 0x0
	v_cmp_eq_u64_e32 vcc_lo, v[2:3], v[4:5]
	v_mov_b64_e32 v[4:5], v[2:3]
	s_or_b32 s7, vcc_lo, s7
	s_delay_alu instid0(SALU_CYCLE_1)
	s_and_not1_b32 exec_lo, exec_lo, s7
	s_cbranch_execnz .LBB6_2829
.LBB6_2830:
	s_or_b32 exec_lo, exec_lo, s6
	v_mov_b32_e32 v5, 0
	s_mov_b32 s7, exec_lo
	s_mov_b32 s6, exec_lo
	v_mbcnt_lo_u32_b32 v4, s7, 0
	global_load_b64 v[2:3], v5, s[2:3] offset:16
	s_wait_xcnt 0x0
	v_cmpx_eq_u32_e32 0, v4
	s_cbranch_execz .LBB6_2832
; %bb.2831:
	s_bcnt1_i32_b32 s7, s7
	s_delay_alu instid0(SALU_CYCLE_1)
	v_mov_b32_e32 v4, s7
	global_wb scope:SCOPE_SYS
	s_wait_loadcnt 0x0
	s_wait_storecnt 0x0
	global_atomic_add_u64 v[2:3], v[4:5], off offset:8 scope:SCOPE_SYS
.LBB6_2832:
	s_wait_xcnt 0x0
	s_or_b32 exec_lo, exec_lo, s6
	s_wait_loadcnt 0x0
	global_load_b64 v[4:5], v[2:3], off offset:16
	s_wait_loadcnt 0x0
	v_cmp_eq_u64_e32 vcc_lo, 0, v[4:5]
	s_cbranch_vccnz .LBB6_2834
; %bb.2833:
	global_load_b32 v2, v[2:3], off offset:24
	s_wait_xcnt 0x0
	v_mov_b32_e32 v3, 0
	s_wait_loadcnt 0x0
	v_readfirstlane_b32 s6, v2
	global_wb scope:SCOPE_SYS
	s_wait_storecnt 0x0
	global_store_b64 v[4:5], v[2:3], off scope:SCOPE_SYS
	s_and_b32 m0, s6, 0xffffff
	s_sendmsg sendmsg(MSG_INTERRUPT)
.LBB6_2834:
	s_wait_xcnt 0x0
	s_or_b32 exec_lo, exec_lo, s1
	v_add_nc_u64_e32 v[2:3], v[6:7], v[0:1]
	s_branch .LBB6_2838
.LBB6_2835:                             ;   in Loop: Header=BB6_2838 Depth=1
	s_wait_xcnt 0x0
	s_or_b32 exec_lo, exec_lo, s1
	s_delay_alu instid0(VALU_DEP_1)
	v_readfirstlane_b32 s1, v1
	s_cmp_eq_u32 s1, 0
	s_cbranch_scc1 .LBB6_2837
; %bb.2836:                             ;   in Loop: Header=BB6_2838 Depth=1
	s_sleep 1
	s_cbranch_execnz .LBB6_2838
	s_branch .LBB6_2840
.LBB6_2837:
	s_branch .LBB6_2840
.LBB6_2838:                             ; =>This Inner Loop Header: Depth=1
	v_mov_b32_e32 v1, 1
	s_and_saveexec_b32 s1, s0
	s_cbranch_execz .LBB6_2835
; %bb.2839:                             ;   in Loop: Header=BB6_2838 Depth=1
	global_load_b32 v1, v[8:9], off offset:20 scope:SCOPE_SYS
	s_wait_loadcnt 0x0
	global_inv scope:SCOPE_SYS
	v_and_b32_e32 v1, 1, v1
	s_branch .LBB6_2835
.LBB6_2840:
	global_load_b64 v[2:3], v[2:3], off
	s_wait_xcnt 0x0
	s_and_saveexec_b32 s6, s0
	s_cbranch_execz .LBB6_2844
; %bb.2841:
	v_mov_b32_e32 v1, 0
	s_clause 0x2
	global_load_b64 v[4:5], v1, s[2:3] offset:40
	global_load_b64 v[12:13], v1, s[2:3] offset:24 scope:SCOPE_SYS
	global_load_b64 v[6:7], v1, s[2:3]
	s_wait_loadcnt 0x2
	v_readfirstlane_b32 s8, v4
	v_readfirstlane_b32 s9, v5
	s_add_nc_u64 s[0:1], s[8:9], 1
	s_delay_alu instid0(SALU_CYCLE_1) | instskip(NEXT) | instid1(SALU_CYCLE_1)
	s_add_nc_u64 s[4:5], s[0:1], s[4:5]
	s_cmp_eq_u64 s[4:5], 0
	s_cselect_b32 s1, s1, s5
	s_cselect_b32 s0, s0, s4
	v_mov_b32_e32 v11, s1
	s_and_b64 s[4:5], s[0:1], s[8:9]
	v_mov_b32_e32 v10, s0
	s_mul_u64 s[4:5], s[4:5], 24
	s_wait_loadcnt 0x0
	v_add_nc_u64_e32 v[8:9], s[4:5], v[6:7]
	global_store_b64 v[8:9], v[12:13], off
	global_wb scope:SCOPE_SYS
	s_wait_storecnt 0x0
	s_wait_xcnt 0x0
	global_atomic_cmpswap_b64 v[6:7], v1, v[10:13], s[2:3] offset:24 th:TH_ATOMIC_RETURN scope:SCOPE_SYS
	s_wait_loadcnt 0x0
	v_cmp_ne_u64_e32 vcc_lo, v[6:7], v[12:13]
	s_and_b32 exec_lo, exec_lo, vcc_lo
	s_cbranch_execz .LBB6_2844
; %bb.2842:
	s_mov_b32 s4, 0
.LBB6_2843:                             ; =>This Inner Loop Header: Depth=1
	v_dual_mov_b32 v4, s0 :: v_dual_mov_b32 v5, s1
	s_sleep 1
	global_store_b64 v[8:9], v[6:7], off
	global_wb scope:SCOPE_SYS
	s_wait_storecnt 0x0
	s_wait_xcnt 0x0
	global_atomic_cmpswap_b64 v[4:5], v1, v[4:7], s[2:3] offset:24 th:TH_ATOMIC_RETURN scope:SCOPE_SYS
	s_wait_loadcnt 0x0
	v_cmp_eq_u64_e32 vcc_lo, v[4:5], v[6:7]
	v_mov_b64_e32 v[6:7], v[4:5]
	s_or_b32 s4, vcc_lo, s4
	s_delay_alu instid0(SALU_CYCLE_1)
	s_and_not1_b32 exec_lo, exec_lo, s4
	s_cbranch_execnz .LBB6_2843
.LBB6_2844:
	s_or_b32 exec_lo, exec_lo, s6
	s_get_pc_i64 s[4:5]
	s_add_nc_u64 s[4:5], s[4:5], .str.28@rel64+4
	s_delay_alu instid0(SALU_CYCLE_1)
	s_cmp_lg_u64 s[4:5], 0
	s_cbranch_scc0 .LBB6_2923
; %bb.2845:
	v_mov_b64_e32 v[6:7], 0x100000002
	s_wait_loadcnt 0x0
	v_dual_mov_b32 v9, v3 :: v_dual_bitop2_b32 v8, -3, v2 bitop3:0x40
	v_mov_b32_e32 v5, 0
	s_mov_b64 s[6:7], 35
	s_branch .LBB6_2847
.LBB6_2846:                             ;   in Loop: Header=BB6_2847 Depth=1
	s_or_b32 exec_lo, exec_lo, s12
	s_sub_nc_u64 s[6:7], s[6:7], s[8:9]
	s_add_nc_u64 s[4:5], s[4:5], s[8:9]
	s_cmp_lg_u64 s[6:7], 0
	s_cbranch_scc0 .LBB6_2922
.LBB6_2847:                             ; =>This Loop Header: Depth=1
                                        ;     Child Loop BB6_2850 Depth 2
                                        ;     Child Loop BB6_2857 Depth 2
	;; [unrolled: 1-line block ×11, first 2 shown]
	s_wait_loadcnt 0x0
	v_min_u64 v[10:11], s[6:7], 56
	v_cmp_gt_u64_e64 s0, s[6:7], 7
	s_and_b32 vcc_lo, exec_lo, s0
	v_readfirstlane_b32 s8, v10
	v_readfirstlane_b32 s9, v11
	s_cbranch_vccnz .LBB6_2852
; %bb.2848:                             ;   in Loop: Header=BB6_2847 Depth=1
	v_mov_b64_e32 v[10:11], 0
	s_cmp_eq_u64 s[6:7], 0
	s_cbranch_scc1 .LBB6_2851
; %bb.2849:                             ;   in Loop: Header=BB6_2847 Depth=1
	s_mov_b64 s[0:1], 0
	s_mov_b64 s[10:11], 0
.LBB6_2850:                             ;   Parent Loop BB6_2847 Depth=1
                                        ; =>  This Inner Loop Header: Depth=2
	s_wait_xcnt 0x0
	s_add_nc_u64 s[12:13], s[4:5], s[10:11]
	s_add_nc_u64 s[10:11], s[10:11], 1
	global_load_u8 v1, v5, s[12:13]
	s_cmp_lg_u32 s8, s10
	s_wait_loadcnt 0x0
	v_and_b32_e32 v4, 0xffff, v1
	s_delay_alu instid0(VALU_DEP_1) | instskip(SKIP_1) | instid1(VALU_DEP_1)
	v_lshlrev_b64_e32 v[12:13], s0, v[4:5]
	s_add_nc_u64 s[0:1], s[0:1], 8
	v_or_b32_e32 v10, v12, v10
	s_delay_alu instid0(VALU_DEP_2)
	v_or_b32_e32 v11, v13, v11
	s_cbranch_scc1 .LBB6_2850
.LBB6_2851:                             ;   in Loop: Header=BB6_2847 Depth=1
	s_mov_b64 s[10:11], s[4:5]
	s_mov_b32 s14, 0
	s_cbranch_execz .LBB6_2853
	s_branch .LBB6_2854
.LBB6_2852:                             ;   in Loop: Header=BB6_2847 Depth=1
	s_add_nc_u64 s[10:11], s[4:5], 8
	s_mov_b32 s14, 0
.LBB6_2853:                             ;   in Loop: Header=BB6_2847 Depth=1
	global_load_b64 v[10:11], v5, s[4:5]
	s_add_co_i32 s14, s8, -8
.LBB6_2854:                             ;   in Loop: Header=BB6_2847 Depth=1
	s_delay_alu instid0(SALU_CYCLE_1)
	s_cmp_gt_u32 s14, 7
	s_cbranch_scc1 .LBB6_2859
; %bb.2855:                             ;   in Loop: Header=BB6_2847 Depth=1
	v_mov_b64_e32 v[12:13], 0
	s_cmp_eq_u32 s14, 0
	s_cbranch_scc1 .LBB6_2858
; %bb.2856:                             ;   in Loop: Header=BB6_2847 Depth=1
	s_mov_b64 s[0:1], 0
	s_wait_xcnt 0x0
	s_mov_b64 s[12:13], 0
.LBB6_2857:                             ;   Parent Loop BB6_2847 Depth=1
                                        ; =>  This Inner Loop Header: Depth=2
	s_wait_xcnt 0x0
	s_add_nc_u64 s[18:19], s[10:11], s[12:13]
	s_add_nc_u64 s[12:13], s[12:13], 1
	global_load_u8 v1, v5, s[18:19]
	s_cmp_lg_u32 s14, s12
	s_wait_loadcnt 0x0
	v_and_b32_e32 v4, 0xffff, v1
	s_delay_alu instid0(VALU_DEP_1) | instskip(SKIP_1) | instid1(VALU_DEP_1)
	v_lshlrev_b64_e32 v[14:15], s0, v[4:5]
	s_add_nc_u64 s[0:1], s[0:1], 8
	v_or_b32_e32 v12, v14, v12
	s_delay_alu instid0(VALU_DEP_2)
	v_or_b32_e32 v13, v15, v13
	s_cbranch_scc1 .LBB6_2857
.LBB6_2858:                             ;   in Loop: Header=BB6_2847 Depth=1
	s_wait_xcnt 0x0
	s_mov_b64 s[0:1], s[10:11]
	s_mov_b32 s15, 0
	s_cbranch_execz .LBB6_2860
	s_branch .LBB6_2861
.LBB6_2859:                             ;   in Loop: Header=BB6_2847 Depth=1
	s_add_nc_u64 s[0:1], s[10:11], 8
	s_wait_xcnt 0x0
                                        ; implicit-def: $vgpr12_vgpr13
	s_mov_b32 s15, 0
.LBB6_2860:                             ;   in Loop: Header=BB6_2847 Depth=1
	global_load_b64 v[12:13], v5, s[10:11]
	s_add_co_i32 s15, s14, -8
.LBB6_2861:                             ;   in Loop: Header=BB6_2847 Depth=1
	s_delay_alu instid0(SALU_CYCLE_1)
	s_cmp_gt_u32 s15, 7
	s_cbranch_scc1 .LBB6_2866
; %bb.2862:                             ;   in Loop: Header=BB6_2847 Depth=1
	v_mov_b64_e32 v[14:15], 0
	s_cmp_eq_u32 s15, 0
	s_cbranch_scc1 .LBB6_2865
; %bb.2863:                             ;   in Loop: Header=BB6_2847 Depth=1
	s_wait_xcnt 0x0
	s_mov_b64 s[10:11], 0
	s_mov_b64 s[12:13], 0
.LBB6_2864:                             ;   Parent Loop BB6_2847 Depth=1
                                        ; =>  This Inner Loop Header: Depth=2
	s_wait_xcnt 0x0
	s_add_nc_u64 s[18:19], s[0:1], s[12:13]
	s_add_nc_u64 s[12:13], s[12:13], 1
	global_load_u8 v1, v5, s[18:19]
	s_cmp_lg_u32 s15, s12
	s_wait_loadcnt 0x0
	v_and_b32_e32 v4, 0xffff, v1
	s_delay_alu instid0(VALU_DEP_1) | instskip(SKIP_1) | instid1(VALU_DEP_1)
	v_lshlrev_b64_e32 v[16:17], s10, v[4:5]
	s_add_nc_u64 s[10:11], s[10:11], 8
	v_or_b32_e32 v14, v16, v14
	s_delay_alu instid0(VALU_DEP_2)
	v_or_b32_e32 v15, v17, v15
	s_cbranch_scc1 .LBB6_2864
.LBB6_2865:                             ;   in Loop: Header=BB6_2847 Depth=1
	s_wait_xcnt 0x0
	s_mov_b64 s[10:11], s[0:1]
	s_mov_b32 s14, 0
	s_cbranch_execz .LBB6_2867
	s_branch .LBB6_2868
.LBB6_2866:                             ;   in Loop: Header=BB6_2847 Depth=1
	s_wait_xcnt 0x0
	s_add_nc_u64 s[10:11], s[0:1], 8
	s_mov_b32 s14, 0
.LBB6_2867:                             ;   in Loop: Header=BB6_2847 Depth=1
	global_load_b64 v[14:15], v5, s[0:1]
	s_add_co_i32 s14, s15, -8
.LBB6_2868:                             ;   in Loop: Header=BB6_2847 Depth=1
	s_delay_alu instid0(SALU_CYCLE_1)
	s_cmp_gt_u32 s14, 7
	s_cbranch_scc1 .LBB6_2873
; %bb.2869:                             ;   in Loop: Header=BB6_2847 Depth=1
	v_mov_b64_e32 v[16:17], 0
	s_cmp_eq_u32 s14, 0
	s_cbranch_scc1 .LBB6_2872
; %bb.2870:                             ;   in Loop: Header=BB6_2847 Depth=1
	s_wait_xcnt 0x0
	s_mov_b64 s[0:1], 0
	s_mov_b64 s[12:13], 0
.LBB6_2871:                             ;   Parent Loop BB6_2847 Depth=1
                                        ; =>  This Inner Loop Header: Depth=2
	s_wait_xcnt 0x0
	s_add_nc_u64 s[18:19], s[10:11], s[12:13]
	s_add_nc_u64 s[12:13], s[12:13], 1
	global_load_u8 v1, v5, s[18:19]
	s_cmp_lg_u32 s14, s12
	s_wait_loadcnt 0x0
	v_and_b32_e32 v4, 0xffff, v1
	s_delay_alu instid0(VALU_DEP_1) | instskip(SKIP_1) | instid1(VALU_DEP_1)
	v_lshlrev_b64_e32 v[18:19], s0, v[4:5]
	s_add_nc_u64 s[0:1], s[0:1], 8
	v_or_b32_e32 v16, v18, v16
	s_delay_alu instid0(VALU_DEP_2)
	v_or_b32_e32 v17, v19, v17
	s_cbranch_scc1 .LBB6_2871
.LBB6_2872:                             ;   in Loop: Header=BB6_2847 Depth=1
	s_wait_xcnt 0x0
	s_mov_b64 s[0:1], s[10:11]
	s_mov_b32 s15, 0
	s_cbranch_execz .LBB6_2874
	s_branch .LBB6_2875
.LBB6_2873:                             ;   in Loop: Header=BB6_2847 Depth=1
	s_wait_xcnt 0x0
	s_add_nc_u64 s[0:1], s[10:11], 8
                                        ; implicit-def: $vgpr16_vgpr17
	s_mov_b32 s15, 0
.LBB6_2874:                             ;   in Loop: Header=BB6_2847 Depth=1
	global_load_b64 v[16:17], v5, s[10:11]
	s_add_co_i32 s15, s14, -8
.LBB6_2875:                             ;   in Loop: Header=BB6_2847 Depth=1
	s_delay_alu instid0(SALU_CYCLE_1)
	s_cmp_gt_u32 s15, 7
	s_cbranch_scc1 .LBB6_2880
; %bb.2876:                             ;   in Loop: Header=BB6_2847 Depth=1
	v_mov_b64_e32 v[18:19], 0
	s_cmp_eq_u32 s15, 0
	s_cbranch_scc1 .LBB6_2879
; %bb.2877:                             ;   in Loop: Header=BB6_2847 Depth=1
	s_wait_xcnt 0x0
	s_mov_b64 s[10:11], 0
	s_mov_b64 s[12:13], 0
.LBB6_2878:                             ;   Parent Loop BB6_2847 Depth=1
                                        ; =>  This Inner Loop Header: Depth=2
	s_wait_xcnt 0x0
	s_add_nc_u64 s[18:19], s[0:1], s[12:13]
	s_add_nc_u64 s[12:13], s[12:13], 1
	global_load_u8 v1, v5, s[18:19]
	s_cmp_lg_u32 s15, s12
	s_wait_loadcnt 0x0
	v_and_b32_e32 v4, 0xffff, v1
	s_delay_alu instid0(VALU_DEP_1) | instskip(SKIP_1) | instid1(VALU_DEP_1)
	v_lshlrev_b64_e32 v[20:21], s10, v[4:5]
	s_add_nc_u64 s[10:11], s[10:11], 8
	v_or_b32_e32 v18, v20, v18
	s_delay_alu instid0(VALU_DEP_2)
	v_or_b32_e32 v19, v21, v19
	s_cbranch_scc1 .LBB6_2878
.LBB6_2879:                             ;   in Loop: Header=BB6_2847 Depth=1
	s_wait_xcnt 0x0
	s_mov_b64 s[10:11], s[0:1]
	s_mov_b32 s14, 0
	s_cbranch_execz .LBB6_2881
	s_branch .LBB6_2882
.LBB6_2880:                             ;   in Loop: Header=BB6_2847 Depth=1
	s_wait_xcnt 0x0
	s_add_nc_u64 s[10:11], s[0:1], 8
	s_mov_b32 s14, 0
.LBB6_2881:                             ;   in Loop: Header=BB6_2847 Depth=1
	global_load_b64 v[18:19], v5, s[0:1]
	s_add_co_i32 s14, s15, -8
.LBB6_2882:                             ;   in Loop: Header=BB6_2847 Depth=1
	s_delay_alu instid0(SALU_CYCLE_1)
	s_cmp_gt_u32 s14, 7
	s_cbranch_scc1 .LBB6_2887
; %bb.2883:                             ;   in Loop: Header=BB6_2847 Depth=1
	v_mov_b64_e32 v[20:21], 0
	s_cmp_eq_u32 s14, 0
	s_cbranch_scc1 .LBB6_2886
; %bb.2884:                             ;   in Loop: Header=BB6_2847 Depth=1
	s_wait_xcnt 0x0
	s_mov_b64 s[0:1], 0
	s_mov_b64 s[12:13], 0
.LBB6_2885:                             ;   Parent Loop BB6_2847 Depth=1
                                        ; =>  This Inner Loop Header: Depth=2
	s_wait_xcnt 0x0
	s_add_nc_u64 s[18:19], s[10:11], s[12:13]
	s_add_nc_u64 s[12:13], s[12:13], 1
	global_load_u8 v1, v5, s[18:19]
	s_cmp_lg_u32 s14, s12
	s_wait_loadcnt 0x0
	v_and_b32_e32 v4, 0xffff, v1
	s_delay_alu instid0(VALU_DEP_1) | instskip(SKIP_1) | instid1(VALU_DEP_1)
	v_lshlrev_b64_e32 v[22:23], s0, v[4:5]
	s_add_nc_u64 s[0:1], s[0:1], 8
	v_or_b32_e32 v20, v22, v20
	s_delay_alu instid0(VALU_DEP_2)
	v_or_b32_e32 v21, v23, v21
	s_cbranch_scc1 .LBB6_2885
.LBB6_2886:                             ;   in Loop: Header=BB6_2847 Depth=1
	s_wait_xcnt 0x0
	s_mov_b64 s[0:1], s[10:11]
	s_mov_b32 s15, 0
	s_cbranch_execz .LBB6_2888
	s_branch .LBB6_2889
.LBB6_2887:                             ;   in Loop: Header=BB6_2847 Depth=1
	s_wait_xcnt 0x0
	s_add_nc_u64 s[0:1], s[10:11], 8
                                        ; implicit-def: $vgpr20_vgpr21
	s_mov_b32 s15, 0
.LBB6_2888:                             ;   in Loop: Header=BB6_2847 Depth=1
	global_load_b64 v[20:21], v5, s[10:11]
	s_add_co_i32 s15, s14, -8
.LBB6_2889:                             ;   in Loop: Header=BB6_2847 Depth=1
	s_delay_alu instid0(SALU_CYCLE_1)
	s_cmp_gt_u32 s15, 7
	s_cbranch_scc1 .LBB6_2894
; %bb.2890:                             ;   in Loop: Header=BB6_2847 Depth=1
	v_mov_b64_e32 v[22:23], 0
	s_cmp_eq_u32 s15, 0
	s_cbranch_scc1 .LBB6_2893
; %bb.2891:                             ;   in Loop: Header=BB6_2847 Depth=1
	s_wait_xcnt 0x0
	s_mov_b64 s[10:11], 0
	s_mov_b64 s[12:13], s[0:1]
.LBB6_2892:                             ;   Parent Loop BB6_2847 Depth=1
                                        ; =>  This Inner Loop Header: Depth=2
	global_load_u8 v1, v5, s[12:13]
	s_add_co_i32 s15, s15, -1
	s_wait_xcnt 0x0
	s_add_nc_u64 s[12:13], s[12:13], 1
	s_cmp_lg_u32 s15, 0
	s_wait_loadcnt 0x0
	v_and_b32_e32 v4, 0xffff, v1
	s_delay_alu instid0(VALU_DEP_1) | instskip(SKIP_1) | instid1(VALU_DEP_1)
	v_lshlrev_b64_e32 v[24:25], s10, v[4:5]
	s_add_nc_u64 s[10:11], s[10:11], 8
	v_or_b32_e32 v22, v24, v22
	s_delay_alu instid0(VALU_DEP_2)
	v_or_b32_e32 v23, v25, v23
	s_cbranch_scc1 .LBB6_2892
.LBB6_2893:                             ;   in Loop: Header=BB6_2847 Depth=1
	s_wait_xcnt 0x0
	s_cbranch_execz .LBB6_2895
	s_branch .LBB6_2896
.LBB6_2894:                             ;   in Loop: Header=BB6_2847 Depth=1
	s_wait_xcnt 0x0
.LBB6_2895:                             ;   in Loop: Header=BB6_2847 Depth=1
	global_load_b64 v[22:23], v5, s[0:1]
.LBB6_2896:                             ;   in Loop: Header=BB6_2847 Depth=1
	s_wait_xcnt 0x0
	v_readfirstlane_b32 s0, v32
	v_mov_b64_e32 v[28:29], 0
	s_delay_alu instid0(VALU_DEP_2)
	v_cmp_eq_u32_e64 s0, s0, v32
	s_and_saveexec_b32 s1, s0
	s_cbranch_execz .LBB6_2902
; %bb.2897:                             ;   in Loop: Header=BB6_2847 Depth=1
	global_load_b64 v[26:27], v5, s[2:3] offset:24 scope:SCOPE_SYS
	s_wait_loadcnt 0x0
	global_inv scope:SCOPE_SYS
	s_clause 0x1
	global_load_b64 v[24:25], v5, s[2:3] offset:40
	global_load_b64 v[28:29], v5, s[2:3]
	s_mov_b32 s10, exec_lo
	s_wait_loadcnt 0x1
	v_and_b32_e32 v24, v24, v26
	v_and_b32_e32 v25, v25, v27
	s_delay_alu instid0(VALU_DEP_1) | instskip(SKIP_1) | instid1(VALU_DEP_1)
	v_mul_u64_e32 v[24:25], 24, v[24:25]
	s_wait_loadcnt 0x0
	v_add_nc_u64_e32 v[24:25], v[28:29], v[24:25]
	global_load_b64 v[24:25], v[24:25], off scope:SCOPE_SYS
	s_wait_xcnt 0x0
	s_wait_loadcnt 0x0
	global_atomic_cmpswap_b64 v[28:29], v5, v[24:27], s[2:3] offset:24 th:TH_ATOMIC_RETURN scope:SCOPE_SYS
	s_wait_loadcnt 0x0
	global_inv scope:SCOPE_SYS
	s_wait_xcnt 0x0
	v_cmpx_ne_u64_e64 v[28:29], v[26:27]
	s_cbranch_execz .LBB6_2901
; %bb.2898:                             ;   in Loop: Header=BB6_2847 Depth=1
	s_mov_b32 s11, 0
.LBB6_2899:                             ;   Parent Loop BB6_2847 Depth=1
                                        ; =>  This Inner Loop Header: Depth=2
	s_sleep 1
	s_clause 0x1
	global_load_b64 v[24:25], v5, s[2:3] offset:40
	global_load_b64 v[30:31], v5, s[2:3]
	v_mov_b64_e32 v[26:27], v[28:29]
	s_wait_loadcnt 0x1
	s_delay_alu instid0(VALU_DEP_1) | instskip(SKIP_1) | instid1(VALU_DEP_1)
	v_and_b32_e32 v1, v24, v26
	s_wait_loadcnt 0x0
	v_mad_nc_u64_u32 v[28:29], v1, 24, v[30:31]
	s_delay_alu instid0(VALU_DEP_3) | instskip(NEXT) | instid1(VALU_DEP_1)
	v_and_b32_e32 v1, v25, v27
	v_mad_u32 v29, v1, 24, v29
	global_load_b64 v[24:25], v[28:29], off scope:SCOPE_SYS
	s_wait_xcnt 0x0
	s_wait_loadcnt 0x0
	global_atomic_cmpswap_b64 v[28:29], v5, v[24:27], s[2:3] offset:24 th:TH_ATOMIC_RETURN scope:SCOPE_SYS
	s_wait_loadcnt 0x0
	global_inv scope:SCOPE_SYS
	v_cmp_eq_u64_e32 vcc_lo, v[28:29], v[26:27]
	s_or_b32 s11, vcc_lo, s11
	s_wait_xcnt 0x0
	s_and_not1_b32 exec_lo, exec_lo, s11
	s_cbranch_execnz .LBB6_2899
; %bb.2900:                             ;   in Loop: Header=BB6_2847 Depth=1
	s_or_b32 exec_lo, exec_lo, s11
.LBB6_2901:                             ;   in Loop: Header=BB6_2847 Depth=1
	s_delay_alu instid0(SALU_CYCLE_1)
	s_or_b32 exec_lo, exec_lo, s10
.LBB6_2902:                             ;   in Loop: Header=BB6_2847 Depth=1
	s_delay_alu instid0(SALU_CYCLE_1)
	s_or_b32 exec_lo, exec_lo, s1
	s_clause 0x1
	global_load_b64 v[30:31], v5, s[2:3] offset:40
	global_load_b128 v[24:27], v5, s[2:3]
	v_readfirstlane_b32 s10, v28
	v_readfirstlane_b32 s11, v29
	s_mov_b32 s1, exec_lo
	s_wait_loadcnt 0x1
	v_and_b32_e32 v30, s10, v30
	v_and_b32_e32 v31, s11, v31
	s_delay_alu instid0(VALU_DEP_1) | instskip(SKIP_1) | instid1(VALU_DEP_1)
	v_mul_u64_e32 v[28:29], 24, v[30:31]
	s_wait_loadcnt 0x0
	v_add_nc_u64_e32 v[28:29], v[24:25], v[28:29]
	s_wait_xcnt 0x0
	s_and_saveexec_b32 s12, s0
	s_cbranch_execz .LBB6_2904
; %bb.2903:                             ;   in Loop: Header=BB6_2847 Depth=1
	v_mov_b32_e32 v4, s1
	global_store_b128 v[28:29], v[4:7], off offset:8
.LBB6_2904:                             ;   in Loop: Header=BB6_2847 Depth=1
	s_wait_xcnt 0x0
	s_or_b32 exec_lo, exec_lo, s12
	v_cmp_gt_u64_e64 s1, s[6:7], 56
	v_lshlrev_b64_e32 v[30:31], 12, v[30:31]
	v_and_b32_e32 v1, 0xffffff1f, v8
	s_and_b32 s1, s1, exec_lo
	s_delay_alu instid0(VALU_DEP_2) | instskip(SKIP_4) | instid1(VALU_DEP_2)
	v_add_nc_u64_e32 v[26:27], v[26:27], v[30:31]
	s_cselect_b32 s1, 0, 2
	s_lshl_b32 s12, s8, 2
	v_or_b32_e32 v1, s1, v1
	s_add_co_i32 s1, s12, 28
	v_readfirstlane_b32 s12, v26
	s_delay_alu instid0(VALU_DEP_3) | instskip(NEXT) | instid1(VALU_DEP_3)
	v_readfirstlane_b32 s13, v27
	v_and_or_b32 v8, 0x1e0, s1, v1
	s_clause 0x3
	global_store_b128 v0, v[8:11], s[12:13]
	global_store_b128 v0, v[12:15], s[12:13] offset:16
	global_store_b128 v0, v[16:19], s[12:13] offset:32
	;; [unrolled: 1-line block ×3, first 2 shown]
	s_wait_xcnt 0x0
	s_and_saveexec_b32 s1, s0
	s_cbranch_execz .LBB6_2912
; %bb.2905:                             ;   in Loop: Header=BB6_2847 Depth=1
	s_clause 0x1
	global_load_b64 v[16:17], v5, s[2:3] offset:32 scope:SCOPE_SYS
	global_load_b64 v[8:9], v5, s[2:3] offset:40
	s_mov_b32 s12, exec_lo
	v_dual_mov_b32 v14, s10 :: v_dual_mov_b32 v15, s11
	s_wait_loadcnt 0x0
	v_and_b32_e32 v9, s11, v9
	v_and_b32_e32 v8, s10, v8
	s_delay_alu instid0(VALU_DEP_1) | instskip(NEXT) | instid1(VALU_DEP_1)
	v_mul_u64_e32 v[8:9], 24, v[8:9]
	v_add_nc_u64_e32 v[12:13], v[24:25], v[8:9]
	global_store_b64 v[12:13], v[16:17], off
	global_wb scope:SCOPE_SYS
	s_wait_storecnt 0x0
	s_wait_xcnt 0x0
	global_atomic_cmpswap_b64 v[10:11], v5, v[14:17], s[2:3] offset:32 th:TH_ATOMIC_RETURN scope:SCOPE_SYS
	s_wait_loadcnt 0x0
	v_cmpx_ne_u64_e64 v[10:11], v[16:17]
	s_cbranch_execz .LBB6_2908
; %bb.2906:                             ;   in Loop: Header=BB6_2847 Depth=1
	s_mov_b32 s13, 0
.LBB6_2907:                             ;   Parent Loop BB6_2847 Depth=1
                                        ; =>  This Inner Loop Header: Depth=2
	v_dual_mov_b32 v8, s10 :: v_dual_mov_b32 v9, s11
	s_sleep 1
	global_store_b64 v[12:13], v[10:11], off
	global_wb scope:SCOPE_SYS
	s_wait_storecnt 0x0
	s_wait_xcnt 0x0
	global_atomic_cmpswap_b64 v[8:9], v5, v[8:11], s[2:3] offset:32 th:TH_ATOMIC_RETURN scope:SCOPE_SYS
	s_wait_loadcnt 0x0
	v_cmp_eq_u64_e32 vcc_lo, v[8:9], v[10:11]
	v_mov_b64_e32 v[10:11], v[8:9]
	s_or_b32 s13, vcc_lo, s13
	s_delay_alu instid0(SALU_CYCLE_1)
	s_and_not1_b32 exec_lo, exec_lo, s13
	s_cbranch_execnz .LBB6_2907
.LBB6_2908:                             ;   in Loop: Header=BB6_2847 Depth=1
	s_or_b32 exec_lo, exec_lo, s12
	global_load_b64 v[8:9], v5, s[2:3] offset:16
	s_mov_b32 s13, exec_lo
	s_mov_b32 s12, exec_lo
	v_mbcnt_lo_u32_b32 v1, s13, 0
	s_wait_xcnt 0x0
	s_delay_alu instid0(VALU_DEP_1)
	v_cmpx_eq_u32_e32 0, v1
	s_cbranch_execz .LBB6_2910
; %bb.2909:                             ;   in Loop: Header=BB6_2847 Depth=1
	s_bcnt1_i32_b32 s13, s13
	s_delay_alu instid0(SALU_CYCLE_1)
	v_mov_b32_e32 v4, s13
	global_wb scope:SCOPE_SYS
	s_wait_loadcnt 0x0
	s_wait_storecnt 0x0
	global_atomic_add_u64 v[8:9], v[4:5], off offset:8 scope:SCOPE_SYS
.LBB6_2910:                             ;   in Loop: Header=BB6_2847 Depth=1
	s_wait_xcnt 0x0
	s_or_b32 exec_lo, exec_lo, s12
	s_wait_loadcnt 0x0
	global_load_b64 v[10:11], v[8:9], off offset:16
	s_wait_loadcnt 0x0
	v_cmp_eq_u64_e32 vcc_lo, 0, v[10:11]
	s_cbranch_vccnz .LBB6_2912
; %bb.2911:                             ;   in Loop: Header=BB6_2847 Depth=1
	global_load_b32 v4, v[8:9], off offset:24
	s_wait_loadcnt 0x0
	v_readfirstlane_b32 s12, v4
	global_wb scope:SCOPE_SYS
	s_wait_storecnt 0x0
	s_wait_xcnt 0x0
	global_store_b64 v[10:11], v[4:5], off scope:SCOPE_SYS
	s_and_b32 m0, s12, 0xffffff
	s_sendmsg sendmsg(MSG_INTERRUPT)
.LBB6_2912:                             ;   in Loop: Header=BB6_2847 Depth=1
	s_wait_xcnt 0x0
	s_or_b32 exec_lo, exec_lo, s1
	v_mov_b32_e32 v1, v5
	s_delay_alu instid0(VALU_DEP_1)
	v_add_nc_u64_e32 v[8:9], v[26:27], v[0:1]
	s_branch .LBB6_2916
.LBB6_2913:                             ;   in Loop: Header=BB6_2916 Depth=2
	s_wait_xcnt 0x0
	s_or_b32 exec_lo, exec_lo, s1
	s_delay_alu instid0(VALU_DEP_1)
	v_readfirstlane_b32 s1, v1
	s_cmp_eq_u32 s1, 0
	s_cbranch_scc1 .LBB6_2915
; %bb.2914:                             ;   in Loop: Header=BB6_2916 Depth=2
	s_sleep 1
	s_cbranch_execnz .LBB6_2916
	s_branch .LBB6_2918
.LBB6_2915:                             ;   in Loop: Header=BB6_2847 Depth=1
	s_branch .LBB6_2918
.LBB6_2916:                             ;   Parent Loop BB6_2847 Depth=1
                                        ; =>  This Inner Loop Header: Depth=2
	v_mov_b32_e32 v1, 1
	s_and_saveexec_b32 s1, s0
	s_cbranch_execz .LBB6_2913
; %bb.2917:                             ;   in Loop: Header=BB6_2916 Depth=2
	global_load_b32 v1, v[28:29], off offset:20 scope:SCOPE_SYS
	s_wait_loadcnt 0x0
	global_inv scope:SCOPE_SYS
	v_and_b32_e32 v1, 1, v1
	s_branch .LBB6_2913
.LBB6_2918:                             ;   in Loop: Header=BB6_2847 Depth=1
	global_load_b128 v[8:11], v[8:9], off
	s_wait_xcnt 0x0
	s_and_saveexec_b32 s12, s0
	s_cbranch_execz .LBB6_2846
; %bb.2919:                             ;   in Loop: Header=BB6_2847 Depth=1
	s_wait_loadcnt 0x0
	s_clause 0x2
	global_load_b64 v[10:11], v5, s[2:3] offset:40
	global_load_b64 v[18:19], v5, s[2:3] offset:24 scope:SCOPE_SYS
	global_load_b64 v[12:13], v5, s[2:3]
	s_wait_loadcnt 0x2
	v_readfirstlane_b32 s14, v10
	v_readfirstlane_b32 s15, v11
	s_add_nc_u64 s[0:1], s[14:15], 1
	s_delay_alu instid0(SALU_CYCLE_1) | instskip(NEXT) | instid1(SALU_CYCLE_1)
	s_add_nc_u64 s[10:11], s[0:1], s[10:11]
	s_cmp_eq_u64 s[10:11], 0
	s_cselect_b32 s1, s1, s11
	s_cselect_b32 s0, s0, s10
	s_delay_alu instid0(SALU_CYCLE_1) | instskip(SKIP_1) | instid1(SALU_CYCLE_1)
	v_dual_mov_b32 v17, s1 :: v_dual_mov_b32 v16, s0
	s_and_b64 s[10:11], s[0:1], s[14:15]
	s_mul_u64 s[10:11], s[10:11], 24
	s_wait_loadcnt 0x0
	v_add_nc_u64_e32 v[14:15], s[10:11], v[12:13]
	global_store_b64 v[14:15], v[18:19], off
	global_wb scope:SCOPE_SYS
	s_wait_storecnt 0x0
	s_wait_xcnt 0x0
	global_atomic_cmpswap_b64 v[12:13], v5, v[16:19], s[2:3] offset:24 th:TH_ATOMIC_RETURN scope:SCOPE_SYS
	s_wait_loadcnt 0x0
	v_cmp_ne_u64_e32 vcc_lo, v[12:13], v[18:19]
	s_and_b32 exec_lo, exec_lo, vcc_lo
	s_cbranch_execz .LBB6_2846
; %bb.2920:                             ;   in Loop: Header=BB6_2847 Depth=1
	s_mov_b32 s10, 0
.LBB6_2921:                             ;   Parent Loop BB6_2847 Depth=1
                                        ; =>  This Inner Loop Header: Depth=2
	v_dual_mov_b32 v10, s0 :: v_dual_mov_b32 v11, s1
	s_sleep 1
	global_store_b64 v[14:15], v[12:13], off
	global_wb scope:SCOPE_SYS
	s_wait_storecnt 0x0
	s_wait_xcnt 0x0
	global_atomic_cmpswap_b64 v[10:11], v5, v[10:13], s[2:3] offset:24 th:TH_ATOMIC_RETURN scope:SCOPE_SYS
	s_wait_loadcnt 0x0
	v_cmp_eq_u64_e32 vcc_lo, v[10:11], v[12:13]
	v_mov_b64_e32 v[12:13], v[10:11]
	s_or_b32 s10, vcc_lo, s10
	s_delay_alu instid0(SALU_CYCLE_1)
	s_and_not1_b32 exec_lo, exec_lo, s10
	s_cbranch_execnz .LBB6_2921
	s_branch .LBB6_2846
.LBB6_2922:
	s_branch .LBB6_2951
.LBB6_2923:
	s_cbranch_execz .LBB6_2951
; %bb.2924:
	v_readfirstlane_b32 s0, v32
	s_wait_loadcnt 0x0
	v_mov_b64_e32 v[10:11], 0
	s_delay_alu instid0(VALU_DEP_2)
	v_cmp_eq_u32_e64 s0, s0, v32
	s_and_saveexec_b32 s1, s0
	s_cbranch_execz .LBB6_2930
; %bb.2925:
	v_mov_b32_e32 v1, 0
	s_mov_b32 s4, exec_lo
	global_load_b64 v[6:7], v1, s[2:3] offset:24 scope:SCOPE_SYS
	s_wait_loadcnt 0x0
	global_inv scope:SCOPE_SYS
	s_clause 0x1
	global_load_b64 v[4:5], v1, s[2:3] offset:40
	global_load_b64 v[8:9], v1, s[2:3]
	s_wait_loadcnt 0x1
	v_and_b32_e32 v4, v4, v6
	v_and_b32_e32 v5, v5, v7
	s_delay_alu instid0(VALU_DEP_1) | instskip(SKIP_1) | instid1(VALU_DEP_1)
	v_mul_u64_e32 v[4:5], 24, v[4:5]
	s_wait_loadcnt 0x0
	v_add_nc_u64_e32 v[4:5], v[8:9], v[4:5]
	global_load_b64 v[4:5], v[4:5], off scope:SCOPE_SYS
	s_wait_xcnt 0x0
	s_wait_loadcnt 0x0
	global_atomic_cmpswap_b64 v[10:11], v1, v[4:7], s[2:3] offset:24 th:TH_ATOMIC_RETURN scope:SCOPE_SYS
	s_wait_loadcnt 0x0
	global_inv scope:SCOPE_SYS
	s_wait_xcnt 0x0
	v_cmpx_ne_u64_e64 v[10:11], v[6:7]
	s_cbranch_execz .LBB6_2929
; %bb.2926:
	s_mov_b32 s5, 0
.LBB6_2927:                             ; =>This Inner Loop Header: Depth=1
	s_sleep 1
	s_clause 0x1
	global_load_b64 v[4:5], v1, s[2:3] offset:40
	global_load_b64 v[8:9], v1, s[2:3]
	v_mov_b64_e32 v[6:7], v[10:11]
	s_wait_loadcnt 0x1
	s_delay_alu instid0(VALU_DEP_1) | instskip(SKIP_1) | instid1(VALU_DEP_1)
	v_and_b32_e32 v4, v4, v6
	s_wait_loadcnt 0x0
	v_mad_nc_u64_u32 v[8:9], v4, 24, v[8:9]
	s_delay_alu instid0(VALU_DEP_3) | instskip(NEXT) | instid1(VALU_DEP_1)
	v_and_b32_e32 v4, v5, v7
	v_mad_u32 v9, v4, 24, v9
	global_load_b64 v[4:5], v[8:9], off scope:SCOPE_SYS
	s_wait_xcnt 0x0
	s_wait_loadcnt 0x0
	global_atomic_cmpswap_b64 v[10:11], v1, v[4:7], s[2:3] offset:24 th:TH_ATOMIC_RETURN scope:SCOPE_SYS
	s_wait_loadcnt 0x0
	global_inv scope:SCOPE_SYS
	v_cmp_eq_u64_e32 vcc_lo, v[10:11], v[6:7]
	s_or_b32 s5, vcc_lo, s5
	s_wait_xcnt 0x0
	s_and_not1_b32 exec_lo, exec_lo, s5
	s_cbranch_execnz .LBB6_2927
; %bb.2928:
	s_or_b32 exec_lo, exec_lo, s5
.LBB6_2929:
	s_delay_alu instid0(SALU_CYCLE_1)
	s_or_b32 exec_lo, exec_lo, s4
.LBB6_2930:
	s_delay_alu instid0(SALU_CYCLE_1)
	s_or_b32 exec_lo, exec_lo, s1
	v_readfirstlane_b32 s4, v10
	v_mov_b32_e32 v4, 0
	v_readfirstlane_b32 s5, v11
	s_mov_b32 s1, exec_lo
	s_clause 0x1
	global_load_b64 v[12:13], v4, s[2:3] offset:40
	global_load_b128 v[6:9], v4, s[2:3]
	s_wait_loadcnt 0x1
	v_and_b32_e32 v12, s4, v12
	v_and_b32_e32 v13, s5, v13
	s_delay_alu instid0(VALU_DEP_1) | instskip(SKIP_1) | instid1(VALU_DEP_1)
	v_mul_u64_e32 v[10:11], 24, v[12:13]
	s_wait_loadcnt 0x0
	v_add_nc_u64_e32 v[10:11], v[6:7], v[10:11]
	s_wait_xcnt 0x0
	s_and_saveexec_b32 s6, s0
	s_cbranch_execz .LBB6_2932
; %bb.2931:
	v_mov_b64_e32 v[16:17], 0x100000002
	v_dual_mov_b32 v14, s1 :: v_dual_mov_b32 v15, v4
	global_store_b128 v[10:11], v[14:17], off offset:8
.LBB6_2932:
	s_wait_xcnt 0x0
	s_or_b32 exec_lo, exec_lo, s6
	v_lshlrev_b64_e32 v[12:13], 12, v[12:13]
	s_mov_b32 s8, 0
	v_and_or_b32 v2, 0xffffff1d, v2, 34
	s_mov_b32 s10, s8
	s_mov_b32 s11, s8
	s_mov_b32 s9, s8
	v_mov_b32_e32 v5, v4
	v_add_nc_u64_e32 v[8:9], v[8:9], v[12:13]
	v_mov_b64_e32 v[14:15], s[10:11]
	v_mov_b64_e32 v[12:13], s[8:9]
	s_delay_alu instid0(VALU_DEP_3) | instskip(NEXT) | instid1(VALU_DEP_4)
	v_readfirstlane_b32 s6, v8
	v_readfirstlane_b32 s7, v9
	s_clause 0x3
	global_store_b128 v0, v[2:5], s[6:7]
	global_store_b128 v0, v[12:15], s[6:7] offset:16
	global_store_b128 v0, v[12:15], s[6:7] offset:32
	;; [unrolled: 1-line block ×3, first 2 shown]
	s_wait_xcnt 0x0
	s_and_saveexec_b32 s1, s0
	s_cbranch_execz .LBB6_2940
; %bb.2933:
	v_dual_mov_b32 v8, 0 :: v_dual_mov_b32 v13, s5
	s_mov_b32 s6, exec_lo
	s_clause 0x1
	global_load_b64 v[14:15], v8, s[2:3] offset:32 scope:SCOPE_SYS
	global_load_b64 v[0:1], v8, s[2:3] offset:40
	s_wait_loadcnt 0x0
	v_dual_mov_b32 v12, s4 :: v_dual_bitop2_b32 v1, s5, v1 bitop3:0x40
	v_and_b32_e32 v0, s4, v0
	s_delay_alu instid0(VALU_DEP_1) | instskip(NEXT) | instid1(VALU_DEP_1)
	v_mul_u64_e32 v[0:1], 24, v[0:1]
	v_add_nc_u64_e32 v[4:5], v[6:7], v[0:1]
	global_store_b64 v[4:5], v[14:15], off
	global_wb scope:SCOPE_SYS
	s_wait_storecnt 0x0
	s_wait_xcnt 0x0
	global_atomic_cmpswap_b64 v[2:3], v8, v[12:15], s[2:3] offset:32 th:TH_ATOMIC_RETURN scope:SCOPE_SYS
	s_wait_loadcnt 0x0
	v_cmpx_ne_u64_e64 v[2:3], v[14:15]
	s_cbranch_execz .LBB6_2936
; %bb.2934:
	s_mov_b32 s7, 0
.LBB6_2935:                             ; =>This Inner Loop Header: Depth=1
	v_dual_mov_b32 v0, s4 :: v_dual_mov_b32 v1, s5
	s_sleep 1
	global_store_b64 v[4:5], v[2:3], off
	global_wb scope:SCOPE_SYS
	s_wait_storecnt 0x0
	s_wait_xcnt 0x0
	global_atomic_cmpswap_b64 v[0:1], v8, v[0:3], s[2:3] offset:32 th:TH_ATOMIC_RETURN scope:SCOPE_SYS
	s_wait_loadcnt 0x0
	v_cmp_eq_u64_e32 vcc_lo, v[0:1], v[2:3]
	v_mov_b64_e32 v[2:3], v[0:1]
	s_or_b32 s7, vcc_lo, s7
	s_delay_alu instid0(SALU_CYCLE_1)
	s_and_not1_b32 exec_lo, exec_lo, s7
	s_cbranch_execnz .LBB6_2935
.LBB6_2936:
	s_or_b32 exec_lo, exec_lo, s6
	v_mov_b32_e32 v3, 0
	s_mov_b32 s7, exec_lo
	s_mov_b32 s6, exec_lo
	v_mbcnt_lo_u32_b32 v2, s7, 0
	global_load_b64 v[0:1], v3, s[2:3] offset:16
	s_wait_xcnt 0x0
	v_cmpx_eq_u32_e32 0, v2
	s_cbranch_execz .LBB6_2938
; %bb.2937:
	s_bcnt1_i32_b32 s7, s7
	s_delay_alu instid0(SALU_CYCLE_1)
	v_mov_b32_e32 v2, s7
	global_wb scope:SCOPE_SYS
	s_wait_loadcnt 0x0
	s_wait_storecnt 0x0
	global_atomic_add_u64 v[0:1], v[2:3], off offset:8 scope:SCOPE_SYS
.LBB6_2938:
	s_wait_xcnt 0x0
	s_or_b32 exec_lo, exec_lo, s6
	s_wait_loadcnt 0x0
	global_load_b64 v[2:3], v[0:1], off offset:16
	s_wait_loadcnt 0x0
	v_cmp_eq_u64_e32 vcc_lo, 0, v[2:3]
	s_cbranch_vccnz .LBB6_2940
; %bb.2939:
	global_load_b32 v0, v[0:1], off offset:24
	s_wait_xcnt 0x0
	v_mov_b32_e32 v1, 0
	s_wait_loadcnt 0x0
	v_readfirstlane_b32 s6, v0
	global_wb scope:SCOPE_SYS
	s_wait_storecnt 0x0
	global_store_b64 v[2:3], v[0:1], off scope:SCOPE_SYS
	s_and_b32 m0, s6, 0xffffff
	s_sendmsg sendmsg(MSG_INTERRUPT)
.LBB6_2940:
	s_wait_xcnt 0x0
	s_or_b32 exec_lo, exec_lo, s1
	s_branch .LBB6_2944
.LBB6_2941:                             ;   in Loop: Header=BB6_2944 Depth=1
	s_wait_xcnt 0x0
	s_or_b32 exec_lo, exec_lo, s1
	s_delay_alu instid0(VALU_DEP_1)
	v_readfirstlane_b32 s1, v0
	s_cmp_eq_u32 s1, 0
	s_cbranch_scc1 .LBB6_2943
; %bb.2942:                             ;   in Loop: Header=BB6_2944 Depth=1
	s_sleep 1
	s_cbranch_execnz .LBB6_2944
	s_branch .LBB6_2946
.LBB6_2943:
	s_branch .LBB6_2946
.LBB6_2944:                             ; =>This Inner Loop Header: Depth=1
	v_mov_b32_e32 v0, 1
	s_and_saveexec_b32 s1, s0
	s_cbranch_execz .LBB6_2941
; %bb.2945:                             ;   in Loop: Header=BB6_2944 Depth=1
	global_load_b32 v0, v[10:11], off offset:20 scope:SCOPE_SYS
	s_wait_loadcnt 0x0
	global_inv scope:SCOPE_SYS
	v_and_b32_e32 v0, 1, v0
	s_branch .LBB6_2941
.LBB6_2946:
	s_and_saveexec_b32 s6, s0
	s_cbranch_execz .LBB6_2950
; %bb.2947:
	v_mov_b32_e32 v6, 0
	s_clause 0x2
	global_load_b64 v[0:1], v6, s[2:3] offset:40
	global_load_b64 v[10:11], v6, s[2:3] offset:24 scope:SCOPE_SYS
	global_load_b64 v[2:3], v6, s[2:3]
	s_wait_loadcnt 0x2
	v_readfirstlane_b32 s8, v0
	v_readfirstlane_b32 s9, v1
	s_add_nc_u64 s[0:1], s[8:9], 1
	s_delay_alu instid0(SALU_CYCLE_1) | instskip(NEXT) | instid1(SALU_CYCLE_1)
	s_add_nc_u64 s[4:5], s[0:1], s[4:5]
	s_cmp_eq_u64 s[4:5], 0
	s_cselect_b32 s1, s1, s5
	s_cselect_b32 s0, s0, s4
	v_mov_b32_e32 v9, s1
	s_and_b64 s[4:5], s[0:1], s[8:9]
	v_mov_b32_e32 v8, s0
	s_mul_u64 s[4:5], s[4:5], 24
	s_wait_loadcnt 0x0
	v_add_nc_u64_e32 v[4:5], s[4:5], v[2:3]
	global_store_b64 v[4:5], v[10:11], off
	global_wb scope:SCOPE_SYS
	s_wait_storecnt 0x0
	s_wait_xcnt 0x0
	global_atomic_cmpswap_b64 v[2:3], v6, v[8:11], s[2:3] offset:24 th:TH_ATOMIC_RETURN scope:SCOPE_SYS
	s_wait_loadcnt 0x0
	v_cmp_ne_u64_e32 vcc_lo, v[2:3], v[10:11]
	s_and_b32 exec_lo, exec_lo, vcc_lo
	s_cbranch_execz .LBB6_2950
; %bb.2948:
	s_mov_b32 s4, 0
.LBB6_2949:                             ; =>This Inner Loop Header: Depth=1
	v_dual_mov_b32 v0, s0 :: v_dual_mov_b32 v1, s1
	s_sleep 1
	global_store_b64 v[4:5], v[2:3], off
	global_wb scope:SCOPE_SYS
	s_wait_storecnt 0x0
	s_wait_xcnt 0x0
	global_atomic_cmpswap_b64 v[0:1], v6, v[0:3], s[2:3] offset:24 th:TH_ATOMIC_RETURN scope:SCOPE_SYS
	s_wait_loadcnt 0x0
	v_cmp_eq_u64_e32 vcc_lo, v[0:1], v[2:3]
	v_mov_b64_e32 v[2:3], v[0:1]
	s_or_b32 s4, vcc_lo, s4
	s_delay_alu instid0(SALU_CYCLE_1)
	s_and_not1_b32 exec_lo, exec_lo, s4
	s_cbranch_execnz .LBB6_2949
.LBB6_2950:
	s_or_b32 exec_lo, exec_lo, s6
.LBB6_2951:
	s_get_pc_i64 s[0:1]
	s_add_nc_u64 s[0:1], s[0:1], .str.29@rel64+4
	s_get_pc_i64 s[2:3]
	s_add_nc_u64 s[2:3], s[2:3], .str.19@rel64+4
	s_get_pc_i64 s[4:5]
	s_add_nc_u64 s[4:5], s[4:5], __PRETTY_FUNCTION__._ZN7VecsMemIjLi8192EE5fetchEi@rel64+4
	v_dual_mov_b32 v0, s0 :: v_dual_mov_b32 v1, s1
	s_wait_loadcnt 0x0
	v_dual_mov_b32 v2, s2 :: v_dual_mov_b32 v3, s3
	v_dual_mov_b32 v4, 12 :: v_dual_mov_b32 v5, s4
	v_mov_b32_e32 v6, s5
	s_get_pc_i64 s[6:7]
	s_add_nc_u64 s[6:7], s[6:7], __assert_fail@rel64+4
	s_mov_b64 s[8:9], s[52:53]
	s_swap_pc_i64 s[30:31], s[6:7]
	s_or_b32 s64, s64, exec_lo
.LBB6_2952:
	s_or_b32 exec_lo, exec_lo, s17
	s_delay_alu instid0(SALU_CYCLE_1) | instskip(SKIP_1) | instid1(SALU_CYCLE_1)
	s_and_not1_b32 s0, s54, exec_lo
	s_and_b32 s1, s64, exec_lo
	s_or_b32 s54, s0, s1
	s_or_b32 exec_lo, exec_lo, s55
	s_and_saveexec_b32 s0, s54
	s_cbranch_execnz .LBB6_3
	s_branch .LBB6_4
.Lfunc_end6:
	.size	_ZN3sop12sopFactorRecEPNS_3SopEiP7VecsMemIjLi8192EEPN8subgUtil4SubgILi256EEE, .Lfunc_end6-_ZN3sop12sopFactorRecEPNS_3SopEiP7VecsMemIjLi8192EEPN8subgUtil4SubgILi256EEE
                                        ; -- End function
	.set .L_ZN3sop12sopFactorRecEPNS_3SopEiP7VecsMemIjLi8192EEPN8subgUtil4SubgILi256EEE.num_vgpr, max(85, .L__assert_fail.num_vgpr, .L_ZN3sop23sopFactorTrivialCubeRecEjiiPN8subgUtil4SubgILi256EEE.num_vgpr, .L_ZN3sop19sopFactorTrivialRecEPjiiPN8subgUtil4SubgILi256EEE.num_vgpr)
	.set .L_ZN3sop12sopFactorRecEPNS_3SopEiP7VecsMemIjLi8192EEPN8subgUtil4SubgILi256EEE.num_agpr, max(0, .L__assert_fail.num_agpr, .L_ZN3sop23sopFactorTrivialCubeRecEjiiPN8subgUtil4SubgILi256EEE.num_agpr, .L_ZN3sop19sopFactorTrivialRecEPjiiPN8subgUtil4SubgILi256EEE.num_agpr)
	.set .L_ZN3sop12sopFactorRecEPNS_3SopEiP7VecsMemIjLi8192EEPN8subgUtil4SubgILi256EEE.numbered_sgpr, max(72, .L__assert_fail.numbered_sgpr, .L_ZN3sop23sopFactorTrivialCubeRecEjiiPN8subgUtil4SubgILi256EEE.numbered_sgpr, .L_ZN3sop19sopFactorTrivialRecEPjiiPN8subgUtil4SubgILi256EEE.numbered_sgpr)
	.set .L_ZN3sop12sopFactorRecEPNS_3SopEiP7VecsMemIjLi8192EEPN8subgUtil4SubgILi256EEE.num_named_barrier, max(0, .L__assert_fail.num_named_barrier, .L_ZN3sop23sopFactorTrivialCubeRecEjiiPN8subgUtil4SubgILi256EEE.num_named_barrier, .L_ZN3sop19sopFactorTrivialRecEPjiiPN8subgUtil4SubgILi256EEE.num_named_barrier)
	.set .L_ZN3sop12sopFactorRecEPNS_3SopEiP7VecsMemIjLi8192EEPN8subgUtil4SubgILi256EEE.private_seg_size, 192+max(.L__assert_fail.private_seg_size, .L_ZN3sop23sopFactorTrivialCubeRecEjiiPN8subgUtil4SubgILi256EEE.private_seg_size, .L_ZN3sop19sopFactorTrivialRecEPjiiPN8subgUtil4SubgILi256EEE.private_seg_size)
	.set .L_ZN3sop12sopFactorRecEPNS_3SopEiP7VecsMemIjLi8192EEPN8subgUtil4SubgILi256EEE.uses_vcc, or(1, .L__assert_fail.uses_vcc, .L_ZN3sop23sopFactorTrivialCubeRecEjiiPN8subgUtil4SubgILi256EEE.uses_vcc, .L_ZN3sop19sopFactorTrivialRecEPjiiPN8subgUtil4SubgILi256EEE.uses_vcc)
	.set .L_ZN3sop12sopFactorRecEPNS_3SopEiP7VecsMemIjLi8192EEPN8subgUtil4SubgILi256EEE.uses_flat_scratch, or(1, .L__assert_fail.uses_flat_scratch, .L_ZN3sop23sopFactorTrivialCubeRecEjiiPN8subgUtil4SubgILi256EEE.uses_flat_scratch, .L_ZN3sop19sopFactorTrivialRecEPjiiPN8subgUtil4SubgILi256EEE.uses_flat_scratch)
	.set .L_ZN3sop12sopFactorRecEPNS_3SopEiP7VecsMemIjLi8192EEPN8subgUtil4SubgILi256EEE.has_dyn_sized_stack, or(0, .L__assert_fail.has_dyn_sized_stack, .L_ZN3sop23sopFactorTrivialCubeRecEjiiPN8subgUtil4SubgILi256EEE.has_dyn_sized_stack, .L_ZN3sop19sopFactorTrivialRecEPjiiPN8subgUtil4SubgILi256EEE.has_dyn_sized_stack)
	.set .L_ZN3sop12sopFactorRecEPNS_3SopEiP7VecsMemIjLi8192EEPN8subgUtil4SubgILi256EEE.has_recursion, or(1, .L__assert_fail.has_recursion, .L_ZN3sop23sopFactorTrivialCubeRecEjiiPN8subgUtil4SubgILi256EEE.has_recursion, .L_ZN3sop19sopFactorTrivialRecEPjiiPN8subgUtil4SubgILi256EEE.has_recursion)
	.set .L_ZN3sop12sopFactorRecEPNS_3SopEiP7VecsMemIjLi8192EEPN8subgUtil4SubgILi256EEE.has_indirect_call, or(0, .L__assert_fail.has_indirect_call, .L_ZN3sop23sopFactorTrivialCubeRecEjiiPN8subgUtil4SubgILi256EEE.has_indirect_call, .L_ZN3sop19sopFactorTrivialRecEPjiiPN8subgUtil4SubgILi256EEE.has_indirect_call)
	.section	.AMDGPU.csdata,"",@progbits
; Function info:
; codeLenInByte = 120948
; TotalNumSgprs: 74
; NumVgprs: 85
; ScratchSize: 336
; MemoryBound: 0
	.text
	.protected	_Z8resynCutPKiS0_S0_S0_PKyPKjiS0_PyPiS6_S6_PjS0_S4_ii ; -- Begin function _Z8resynCutPKiS0_S0_S0_PKyPKjiS0_PyPiS6_S6_PjS0_S4_ii
	.globl	_Z8resynCutPKiS0_S0_S0_PKyPKjiS0_PyPiS6_S6_PjS0_S4_ii
	.p2align	8
	.type	_Z8resynCutPKiS0_S0_S0_PKyPKjiS0_PyPiS6_S6_PjS0_S4_ii,@function
_Z8resynCutPKiS0_S0_S0_PKyPKjiS0_PyPiS6_S6_PjS0_S4_ii: ; @_Z8resynCutPKiS0_S0_S0_PKyPKjiS0_PyPiS6_S6_PjS0_S4_ii
; %bb.0:
	s_clause 0x1
	s_load_b32 s2, s[0:1], 0x8c
	s_load_b32 s8, s[0:1], 0x7c
	s_bfe_u32 s6, ttmp6, 0x4000c
	s_and_b32 s5, ttmp6, 15
	s_add_co_i32 s6, s6, 1
	s_getreg_b32 s7, hwreg(HW_REG_IB_STS2, 6, 4)
	s_mul_i32 s6, ttmp9, s6
	v_mov_b32_e32 v95, 0
	s_add_co_i32 s5, s5, s6
	s_mov_b32 s3, 0
	s_mov_b32 s4, -1
	s_mov_b32 s47, 0
	s_mov_b32 s46, 0
	;; [unrolled: 1-line block ×9, first 2 shown]
	s_wait_kmcnt 0x0
	s_and_b32 s2, s2, 0xffff
	s_cmp_eq_u32 s7, 0
	s_mov_b32 s38, 0
	s_cselect_b32 s5, ttmp9, s5
	s_mov_b32 s37, 0
	v_mad_u32 v104, s5, s2, v0
	s_mov_b32 s36, 0
	s_mov_b32 s35, 0
	;; [unrolled: 1-line block ×7, first 2 shown]
	s_add_nc_u64 s[50:51], s[0:1], 0x80
	s_mov_b32 s25, 0
	s_mov_b32 s24, 0
	;; [unrolled: 1-line block ×9, first 2 shown]
	s_mov_b32 s48, exec_lo
	s_mov_b32 s32, 0xa080
	s_clause 0x2
	scratch_store_b32 off, v95, off offset:4160
	scratch_store_b32 off, v95, off offset:36936
	;; [unrolled: 1-line block ×3, first 2 shown]
	s_wait_xcnt 0x0
	v_cmpx_gt_i32_e64 s8, v104
	s_cbranch_execz .LBB7_334
; %bb.1:
	v_mbcnt_lo_u32_b32 v0, -1, 0
	v_mov_b32_e32 v106, 0x1040
                                        ; implicit-def: $vgpr59 : SGPR spill to VGPR lane
	s_load_b64 s[6:7], s[0:1], 0x68
	v_writelane_b32 v59, s48, 0
                                        ; kill: killed $sgpr0_sgpr1
                                        ; implicit-def: $vgpr58 : SGPR spill to VGPR lane
	v_mov_b32_e32 v41, 0x9050
	v_lshlrev_b32_e32 v107, 20, v0
	s_mov_b32 s102, 0
                                        ; implicit-def: $sgpr101
                                        ; implicit-def: $sgpr100
                                        ; implicit-def: $sgpr99
                                        ; implicit-def: $sgpr98
                                        ; implicit-def: $sgpr97
                                        ; implicit-def: $sgpr96
                                        ; implicit-def: $sgpr85
                                        ; implicit-def: $sgpr84
                                        ; implicit-def: $sgpr87
                                        ; implicit-def: $sgpr86
                                        ; implicit-def: $sgpr83
                                        ; implicit-def: $sgpr82
                                        ; implicit-def: $sgpr42
                                        ; implicit-def: $sgpr103
                                        ; implicit-def: $sgpr104
                                        ; implicit-def: $vgpr42
                                        ; implicit-def: $vgpr43
	s_wait_alu 0xf1fe
	s_delay_alu instid0(VALU_DEP_1) | instskip(SKIP_1) | instid1(VALU_DEP_1)
	v_add_nc_u64_e32 v[108:109], src_flat_scratch_base_lo, v[106:107]
	v_mov_b32_e32 v106, 0x9048
	v_add_nc_u64_e32 v[110:111], src_flat_scratch_base_lo, v[106:107]
	v_mov_b32_e32 v106, 0x9850
	s_delay_alu instid0(VALU_DEP_1) | instskip(SKIP_1) | instid1(VALU_DEP_1)
	v_add_nc_u64_e32 v[0:1], src_flat_scratch_base_lo, v[106:107]
	v_mov_b32_e32 v106, 0x1010
	v_add_nc_u64_e32 v[122:123], src_flat_scratch_base_lo, v[106:107]
	scratch_store_b64 off, v[0:1], off offset:41056 ; 8-byte Folded Spill
	s_load_b32 s4, s[0:1], 0x30
	s_load_b32 s3, s[50:51], 0x0
	s_load_b128 s[12:15], s[0:1], 0x20
	v_mov_b32_e32 v106, 0x1030
	s_delay_alu instid0(VALU_DEP_1) | instskip(SKIP_1) | instid1(VALU_DEP_1)
	v_add_nc_u64_e32 v[74:75], src_flat_scratch_base_lo, v[106:107]
	v_mov_b32_e32 v106, 0x800
	v_add_nc_u64_e32 v[0:1], src_flat_scratch_base_lo, v[106:107]
	v_mov_b32_e32 v106, 0x1020
	s_wait_kmcnt 0x0
	s_ashr_i32 s5, s4, 31
	scratch_store_b64 off, v[0:1], off offset:41048 ; 8-byte Folded Spill
	v_writelane_b32 v59, s12, 1
	s_wait_xcnt 0x0
	v_add_nc_u64_e32 v[0:1], src_flat_scratch_base_lo, v[106:107]
	v_writelane_b32 v59, s13, 2
	scratch_store_b64 off, v[0:1], off offset:41064 ; 8-byte Folded Spill
	v_writelane_b32 v59, s14, 3
	v_writelane_b32 v59, s15, 4
	s_load_b256 s[12:19], s[0:1], 0x0
	s_wait_kmcnt 0x0
	v_writelane_b32 v59, s12, 5
	v_writelane_b32 v59, s13, 6
	v_writelane_b32 v59, s14, 7
	v_writelane_b32 v59, s15, 8
	v_writelane_b32 v59, s16, 9
	v_writelane_b32 v59, s17, 10
	v_writelane_b32 v59, s18, 11
	v_writelane_b32 v59, s19, 12
	s_load_b256 s[12:19], s[0:1], 0x38
	s_wait_kmcnt 0x0
	v_writelane_b32 v59, s12, 13
	v_writelane_b32 v59, s13, 14
	;; [unrolled: 1-line block ×8, first 2 shown]
	s_load_b128 s[12:15], s[0:1], 0x58
	s_wait_xcnt 0x0
	s_mov_b32 s1, 0
	v_writelane_b32 v59, s6, 21
	v_writelane_b32 v59, s7, 22
	s_wait_kmcnt 0x0
	v_writelane_b32 v59, s12, 23
	v_writelane_b32 v59, s13, 24
	v_writelane_b32 v59, s14, 25
	v_writelane_b32 v59, s15, 26
	v_writelane_b32 v59, s0, 27
	v_writelane_b32 v59, s1, 28
	s_movk_i32 s0, 0x1044
	s_mov_b32 s1, 0x9858
	s_delay_alu instid0(SALU_CYCLE_1) | instskip(SKIP_2) | instid1(SALU_CYCLE_1)
	v_writelane_b32 v58, s1, 0
	v_writelane_b32 v59, s0, 29
	s_mul_i32 s0, s3, s2
	v_writelane_b32 v59, s0, 30
	s_lshl_b32 s0, s8, 1
	s_delay_alu instid0(SALU_CYCLE_1) | instskip(NEXT) | instid1(SALU_CYCLE_1)
	s_add_co_i32 s0, s0, -1
	v_writelane_b32 v58, s0, 1
	v_writelane_b32 v59, s8, 31
	;; [unrolled: 1-line block ×3, first 2 shown]
	s_sub_nc_u64 s[0:1], 0, s[4:5]
	v_writelane_b32 v58, s5, 3
	v_writelane_b32 v58, s0, 4
	;; [unrolled: 1-line block ×3, first 2 shown]
                                        ; implicit-def: $sgpr0
                                        ; kill: killed $sgpr0
                                        ; implicit-def: $sgpr0
                                        ; kill: killed $sgpr0
                                        ; implicit-def: $sgpr0
                                        ; kill: killed $sgpr0
                                        ; implicit-def: $sgpr0
                                        ; kill: killed $sgpr0
                                        ; implicit-def: $sgpr0
                                        ; kill: killed $sgpr0
                                        ; implicit-def: $sgpr0
                                        ; kill: killed $sgpr0
                                        ; implicit-def: $sgpr0
                                        ; kill: killed $sgpr0
                                        ; implicit-def: $sgpr0
                                        ; kill: killed $sgpr0
                                        ; implicit-def: $sgpr0
                                        ; kill: killed $sgpr0
                                        ; implicit-def: $sgpr0
	v_writelane_b32 v58, s50, 6
                                        ; kill: killed $sgpr0
                                        ; implicit-def: $sgpr0
                                        ; kill: killed $sgpr0
                                        ; implicit-def: $sgpr0
                                        ; kill: killed $sgpr0
                                        ; implicit-def: $sgpr0
                                        ; kill: killed $sgpr0
                                        ; implicit-def: $sgpr0
                                        ; kill: killed $sgpr0
                                        ; implicit-def: $sgpr0
                                        ; kill: killed $sgpr0
	v_writelane_b32 v58, s51, 7
	s_branch .LBB7_15
.LBB7_2:                                ;   in Loop: Header=BB7_15 Depth=1
	s_or_b32 exec_lo, exec_lo, s41
	s_delay_alu instid0(SALU_CYCLE_1)
	s_and_not1_b32 s23, s23, exec_lo
	s_and_b32 s38, s38, exec_lo
	s_and_not1_b32 s20, s20, exec_lo
	s_and_b32 s33, s33, exec_lo
	;; [unrolled: 2-line block ×11, first 2 shown]
	s_or_b32 s23, s23, s38
	s_and_b32 s38, s39, exec_lo
	s_and_b32 s37, s37, exec_lo
	;; [unrolled: 1-line block ×5, first 2 shown]
	s_or_b32 s20, s20, s33
	s_or_b32 s13, s13, s31
	s_or_b32 s21, s21, s30
	s_or_b32 s22, s22, s29
	s_or_b32 s18, s18, s28
	s_or_b32 s19, s19, s27
	s_or_b32 s16, s16, s26
	s_or_b32 s17, s17, s25
	s_or_b32 s14, s14, s24
	s_or_b32 s15, s15, s0
	s_or_not1_b32 s24, s11, exec_lo
.LBB7_3:                                ;   in Loop: Header=BB7_15 Depth=1
	s_or_b32 exec_lo, exec_lo, s12
	s_delay_alu instid0(SALU_CYCLE_1)
	s_and_not1_b32 s0, s9, exec_lo
	s_and_b32 s9, s23, exec_lo
	s_and_not1_b32 s8, s8, exec_lo
	s_or_b32 s9, s0, s9
	s_and_b32 s0, s13, exec_lo
	s_and_b32 s11, s21, exec_lo
	s_and_not1_b32 s7, s7, exec_lo
	s_and_b32 s13, s22, exec_lo
	s_or_b32 s8, s8, s11
	s_or_b32 s7, s7, s13
	s_and_not1_b32 s4, s4, exec_lo
	s_and_b32 s11, s18, exec_lo
	s_and_not1_b32 s1, s1, exec_lo
	s_and_b32 s13, s19, exec_lo
	s_or_b32 s4, s4, s11
	s_or_b32 s1, s1, s13
	s_and_not1_b32 s5, s5, exec_lo
	;; [unrolled: 6-line block ×3, first 2 shown]
	s_and_b32 s11, s14, exec_lo
	s_and_not1_b32 s3, s3, exec_lo
	s_and_b32 s13, s15, exec_lo
	s_and_b32 s28, s38, exec_lo
	;; [unrolled: 1-line block ×7, first 2 shown]
	s_or_b32 s2, s2, s11
	s_or_b32 s3, s3, s13
	s_or_not1_b32 s11, s24, exec_lo
.LBB7_4:                                ;   in Loop: Header=BB7_15 Depth=1
	s_or_b32 exec_lo, exec_lo, s10
	s_delay_alu instid0(SALU_CYCLE_1)
	s_and_not1_b32 s10, s61, exec_lo
	s_and_b32 s9, s9, exec_lo
	s_and_b32 s5, s5, exec_lo
	s_or_b32 s61, s10, s9
	s_and_b32 s9, s0, exec_lo
	s_and_b32 s0, s1, exec_lo
	s_and_not1_b32 s1, s47, exec_lo
	s_and_b32 s10, s12, exec_lo
	s_and_not1_b32 s12, s49, exec_lo
	s_and_b32 s6, s6, exec_lo
	s_or_b32 s47, s1, s5
	s_and_not1_b32 s1, s60, exec_lo
	s_and_b32 s2, s2, exec_lo
	s_and_not1_b32 s5, s48, exec_lo
	s_and_b32 s3, s3, exec_lo
	s_and_b32 s17, s28, exec_lo
	;; [unrolled: 1-line block ×9, first 2 shown]
	s_or_b32 s49, s12, s6
	s_or_b32 s60, s1, s2
	;; [unrolled: 1-line block ×3, first 2 shown]
	s_or_not1_b32 s1, s11, exec_lo
.LBB7_5:                                ;   in Loop: Header=BB7_15 Depth=1
	s_or_b32 exec_lo, exec_lo, s62
	s_delay_alu instid0(SALU_CYCLE_1)
	s_or_not1_b32 s18, s61, exec_lo
	s_and_b32 s20, s17, exec_lo
	s_and_b32 s19, s16, exec_lo
	;; [unrolled: 1-line block ×15, first 2 shown]
	s_or_not1_b32 s1, s1, exec_lo
.LBB7_6:                                ;   in Loop: Header=BB7_15 Depth=1
	s_or_b32 exec_lo, exec_lo, s46
	s_delay_alu instid0(SALU_CYCLE_1)
	s_and_b32 s18, s18, exec_lo
	s_and_b32 s16, s20, exec_lo
	;; [unrolled: 1-line block ×16, first 2 shown]
	s_xor_b32 s2, exec_lo, -1
	s_or_not1_b32 s1, s1, exec_lo
.LBB7_7:                                ;   in Loop: Header=BB7_15 Depth=1
	s_delay_alu instid0(VALU_DEP_1) | instskip(SKIP_1) | instid1(SALU_CYCLE_1)
	v_readlane_b32 s17, v57, 15
	s_or_b32 exec_lo, exec_lo, s17
	s_and_b32 s17, s16, exec_lo
	s_and_b32 s16, s15, exec_lo
	;; [unrolled: 1-line block ×16, first 2 shown]
	v_readlane_b32 s2, v57, 13
	s_and_b32 s18, s18, exec_lo
	s_and_not1_b32 s2, s2, exec_lo
	s_delay_alu instid0(SALU_CYCLE_1) | instskip(NEXT) | instid1(VALU_DEP_1)
	v_writelane_b32 v57, s2, 13
	v_readlane_b32 s2, v57, 8
	s_and_not1_b32 s2, s2, exec_lo
	s_delay_alu instid0(SALU_CYCLE_1) | instskip(NEXT) | instid1(VALU_DEP_1)
	v_writelane_b32 v57, s2, 8
	v_readlane_b32 s2, v57, 12
	;; [unrolled: 4-line block ×5, first 2 shown]
	s_and_not1_b32 s2, s2, exec_lo
	s_delay_alu instid0(SALU_CYCLE_1)
	v_writelane_b32 v57, s2, 9
	s_or_not1_b32 s2, s1, exec_lo
.LBB7_8:                                ;   in Loop: Header=BB7_15 Depth=1
	s_delay_alu instid0(VALU_DEP_1)
	v_readlane_b32 s1, v57, 14
	s_or_b32 exec_lo, exec_lo, s1
	v_readlane_b32 s20, v57, 5
	v_readlane_b32 s21, v57, 12
	s_and_b32 s19, s18, exec_lo
	s_and_b32 s18, s17, exec_lo
	;; [unrolled: 1-line block ×17, first 2 shown]
	v_readlane_b32 s0, v57, 13
	s_and_not1_b32 s20, s20, exec_lo
	s_and_b32 s21, s21, exec_lo
	v_readlane_b32 s22, v57, 4
	v_readlane_b32 s23, v57, 11
	s_or_b32 s20, s20, s21
	s_and_b32 s1, s0, exec_lo
	v_readlane_b32 s0, v57, 8
	v_writelane_b32 v57, s20, 5
	s_and_not1_b32 s22, s22, exec_lo
	s_and_b32 s23, s23, exec_lo
	s_or_not1_b32 s2, s2, exec_lo
	s_or_b32 s20, s22, s23
	s_and_b32 s0, s0, exec_lo
	v_writelane_b32 v57, s20, 4
	s_delay_alu instid0(VALU_DEP_1)
	v_readlane_b32 s20, v57, 3
	v_readlane_b32 s21, v57, 10
	;; [unrolled: 1-line block ×4, first 2 shown]
	s_and_not1_b32 s20, s20, exec_lo
	s_and_b32 s21, s21, exec_lo
	s_and_not1_b32 s22, s22, exec_lo
	s_or_b32 s20, s20, s21
	s_and_b32 s23, s23, exec_lo
	v_writelane_b32 v57, s20, 3
	s_or_b32 s20, s22, s23
	s_delay_alu instid0(SALU_CYCLE_1)
	v_writelane_b32 v57, s20, 2
.LBB7_9:                                ;   in Loop: Header=BB7_15 Depth=1
	s_delay_alu instid0(VALU_DEP_1) | instskip(SKIP_1) | instid1(SALU_CYCLE_1)
	v_readlane_b32 s20, v57, 7
	s_or_b32 exec_lo, exec_lo, s20
	s_and_b32 s22, s17, exec_lo
	s_and_b32 s17, s13, exec_lo
	s_and_b32 s13, s9, exec_lo
	s_and_b32 s9, s5, exec_lo
	s_and_b32 s5, s0, exec_lo
	v_readlane_b32 s0, v57, 5
	s_and_b32 s21, s16, exec_lo
	s_and_b32 s16, s12, exec_lo
	s_and_b32 s12, s8, exec_lo
	s_and_b32 s8, s4, exec_lo
	s_and_b32 s4, s0, exec_lo
	v_readlane_b32 s0, v57, 4
	;; [unrolled: 6-line block ×3, first 2 shown]
	s_and_b32 s24, s19, exec_lo
	s_and_b32 s19, s14, exec_lo
	;; [unrolled: 1-line block ×6, first 2 shown]
	v_readlane_b32 s0, v57, 2
	s_and_b32 s23, s18, exec_lo
	s_or_not1_b32 s18, s0, exec_lo
	s_or_not1_b32 s0, s2, exec_lo
.LBB7_10:                               ;   in Loop: Header=BB7_15 Depth=1
	s_delay_alu instid0(VALU_DEP_1) | instskip(SKIP_1) | instid1(SALU_CYCLE_1)
	v_readlane_b32 s2, v57, 1
	s_or_b32 exec_lo, exec_lo, s2
	s_and_b32 s2, s1, exec_lo
	s_and_b32 s1, s18, exec_lo
	v_readlane_b32 s18, v58, 28
	v_readlane_b32 s25, v57, 0
	s_and_b32 s24, s24, exec_lo
	s_and_b32 s23, s23, exec_lo
	s_and_b32 s22, s22, exec_lo
	s_and_not1_b32 s18, s18, exec_lo
	s_and_b32 s21, s21, exec_lo
	v_writelane_b32 v58, s18, 28
	s_and_b32 s20, s20, exec_lo
	s_and_b32 s19, s19, exec_lo
	;; [unrolled: 1-line block ×4, first 2 shown]
	v_readlane_b32 s18, v58, 29
	s_and_b32 s15, s15, exec_lo
	s_and_b32 s14, s14, exec_lo
	;; [unrolled: 1-line block ×4, first 2 shown]
	s_and_not1_b32 s18, s18, exec_lo
	s_and_b32 s11, s11, exec_lo
	v_writelane_b32 v58, s18, 29
	s_and_b32 s10, s10, exec_lo
	s_and_b32 s9, s9, exec_lo
	;; [unrolled: 1-line block ×4, first 2 shown]
	v_readlane_b32 s18, v58, 30
	s_and_b32 s6, s6, exec_lo
	s_and_b32 s5, s5, exec_lo
	;; [unrolled: 1-line block ×4, first 2 shown]
	s_and_not1_b32 s18, s18, exec_lo
	s_or_not1_b32 s0, s0, exec_lo
	v_writelane_b32 v58, s18, 30
	s_delay_alu instid0(VALU_DEP_1) | instskip(SKIP_1) | instid1(SALU_CYCLE_1)
	v_readlane_b32 s18, v58, 31
	s_and_not1_b32 s18, s18, exec_lo
	v_writelane_b32 v58, s18, 31
.LBB7_11:                               ;   in Loop: Header=BB7_15 Depth=1
	s_or_b32 exec_lo, exec_lo, s25
	s_delay_alu instid0(SALU_CYCLE_1)
	s_and_b32 s27, s24, exec_lo
	s_and_b32 s24, s21, exec_lo
	s_and_b32 s21, s17, exec_lo
	s_and_b32 s17, s13, exec_lo
	s_and_b32 s13, s9, exec_lo
	s_and_b32 s9, s5, exec_lo
	s_and_b32 s5, s1, exec_lo
	v_readlane_b32 s1, v58, 28
	s_and_b32 s26, s23, exec_lo
	s_and_b32 s23, s20, exec_lo
	s_and_b32 s20, s16, exec_lo
	s_and_b32 s16, s12, exec_lo
	s_and_b32 s12, s8, exec_lo
	s_and_b32 s8, s4, exec_lo
	s_and_b32 s4, s1, exec_lo
	v_readlane_b32 s1, v58, 29
	;; [unrolled: 8-line block ×3, first 2 shown]
	s_and_b32 s18, s14, exec_lo
	s_and_b32 s14, s10, exec_lo
	;; [unrolled: 1-line block ×5, first 2 shown]
	v_readlane_b32 s1, v58, 31
	s_or_not1_b32 s0, s0, exec_lo
	s_and_b32 s1, s1, exec_lo
.LBB7_12:                               ;   in Loop: Header=BB7_15 Depth=1
	s_or_b32 exec_lo, exec_lo, s43
	s_delay_alu instid0(SALU_CYCLE_1)
	s_and_b32 s28, s27, exec_lo
	s_and_b32 s27, s26, exec_lo
	;; [unrolled: 1-line block ×27, first 2 shown]
	s_xor_b32 s2, exec_lo, -1
	s_or_not1_b32 s0, s0, exec_lo
.LBB7_13:                               ;   in Loop: Header=BB7_15 Depth=1
	s_delay_alu instid0(VALU_DEP_1)
	v_readlane_b32 s29, v58, 9
	s_or_b32 exec_lo, exec_lo, s29
	v_readlane_b32 s30, v58, 8
	s_and_not1_b32 s29, s104, exec_lo
	s_and_b32 s28, s28, exec_lo
	s_or_not1_b32 s0, s0, exec_lo
	s_or_b32 s104, s29, s28
	s_and_b32 s28, s27, exec_lo
	s_and_b32 s27, s26, exec_lo
	s_and_b32 s26, s25, exec_lo
	s_and_b32 s25, s24, exec_lo
	s_and_b32 s24, s23, exec_lo
	s_and_b32 s23, s22, exec_lo
	s_and_b32 s22, s21, exec_lo
	s_and_b32 s21, s20, exec_lo
	s_and_b32 s20, s19, exec_lo
	s_and_b32 s19, s18, exec_lo
	s_and_b32 s18, s17, exec_lo
	s_and_b32 s17, s16, exec_lo
	s_and_b32 s16, s15, exec_lo
	s_and_b32 s15, s14, exec_lo
	s_and_b32 s14, s13, exec_lo
	s_and_b32 s13, s12, exec_lo
	s_and_b32 s12, s11, exec_lo
	s_and_b32 s11, s10, exec_lo
	s_and_b32 s10, s9, exec_lo
	s_and_b32 s9, s8, exec_lo
	s_and_b32 s8, s7, exec_lo
	s_and_b32 s7, s6, exec_lo
	s_and_b32 s6, s5, exec_lo
	s_and_b32 s5, s4, exec_lo
	s_and_b32 s4, s3, exec_lo
	s_and_b32 s3, s1, exec_lo
	s_and_b32 s1, s2, exec_lo
	s_xor_b32 s2, exec_lo, -1
.LBB7_14:                               ;   in Loop: Header=BB7_15 Depth=1
	s_or_b32 exec_lo, exec_lo, s30
	s_xor_b32 s28, s28, -1
	s_xor_b32 s27, s27, -1
	;; [unrolled: 1-line block ×28, first 2 shown]
	s_and_b32 s0, exec_lo, s0
	s_delay_alu instid0(SALU_CYCLE_1)
	s_or_b32 s102, s0, s102
	s_and_not1_b32 s0, s103, exec_lo
	s_and_b32 s29, s104, exec_lo
	s_and_b32 s28, s28, exec_lo
	s_or_b32 s103, s0, s29
	v_readlane_b32 s29, v58, 10
	s_and_not1_b32 s0, s42, exec_lo
	s_and_b32 s27, s27, exec_lo
	s_or_b32 s42, s0, s28
	s_and_b32 s26, s26, exec_lo
	s_and_not1_b32 s29, s29, exec_lo
	s_and_b32 s25, s25, exec_lo
	s_or_b32 s0, s29, s27
	s_and_b32 s24, s24, exec_lo
	v_writelane_b32 v58, s0, 10
	s_and_b32 s23, s23, exec_lo
	s_and_b32 s22, s22, exec_lo
	;; [unrolled: 1-line block ×4, first 2 shown]
	v_readlane_b32 s0, v58, 11
	v_readlane_b32 s27, v58, 12
	s_and_b32 s19, s19, exec_lo
	s_and_b32 s18, s18, exec_lo
	;; [unrolled: 1-line block ×3, first 2 shown]
	s_and_not1_b32 s0, s0, exec_lo
	s_and_not1_b32 s27, s27, exec_lo
	s_or_b32 s0, s0, s26
	s_and_b32 s16, s16, exec_lo
	v_writelane_b32 v58, s0, 11
	s_or_b32 s0, s27, s25
	s_and_b32 s15, s15, exec_lo
	s_and_b32 s14, s14, exec_lo
	;; [unrolled: 1-line block ×3, first 2 shown]
	v_writelane_b32 v58, s0, 12
	s_and_b32 s12, s12, exec_lo
	s_and_b32 s11, s11, exec_lo
	s_and_b32 s10, s10, exec_lo
	s_and_b32 s9, s9, exec_lo
	v_readlane_b32 s0, v58, 13
	v_readlane_b32 s25, v58, 14
	s_and_b32 s8, s8, exec_lo
	s_and_b32 s7, s7, exec_lo
	;; [unrolled: 1-line block ×3, first 2 shown]
	s_and_not1_b32 s0, s0, exec_lo
	s_and_not1_b32 s25, s25, exec_lo
	s_or_b32 s0, s0, s24
	s_and_b32 s5, s5, exec_lo
	v_writelane_b32 v58, s0, 13
	s_or_b32 s0, s25, s23
	s_and_b32 s4, s4, exec_lo
	s_and_b32 s3, s3, exec_lo
	;; [unrolled: 1-line block ×3, first 2 shown]
	v_writelane_b32 v58, s0, 14
	s_and_b32 s2, s2, exec_lo
	s_delay_alu instid0(VALU_DEP_1) | instskip(SKIP_4) | instid1(SALU_CYCLE_1)
	v_readlane_b32 s0, v58, 15
	v_readlane_b32 s23, v58, 16
	s_and_not1_b32 s0, s0, exec_lo
	s_and_not1_b32 s23, s23, exec_lo
	s_or_b32 s0, s0, s22
	v_writelane_b32 v58, s0, 15
	s_or_b32 s0, s23, s21
	s_delay_alu instid0(SALU_CYCLE_1) | instskip(NEXT) | instid1(VALU_DEP_1)
	v_writelane_b32 v58, s0, 16
	v_readlane_b32 s0, v58, 17
	v_readlane_b32 s21, v58, 18
	s_and_not1_b32 s0, s0, exec_lo
	s_and_not1_b32 s21, s21, exec_lo
	s_or_b32 s0, s0, s20
	s_delay_alu instid0(SALU_CYCLE_1) | instskip(SKIP_1) | instid1(SALU_CYCLE_1)
	v_writelane_b32 v58, s0, 17
	s_or_b32 s0, s21, s19
	v_writelane_b32 v58, s0, 18
	s_delay_alu instid0(VALU_DEP_1) | instskip(SKIP_4) | instid1(SALU_CYCLE_1)
	v_readlane_b32 s0, v58, 19
	v_readlane_b32 s19, v58, 20
	s_and_not1_b32 s0, s0, exec_lo
	s_and_not1_b32 s19, s19, exec_lo
	s_or_b32 s0, s0, s18
	v_writelane_b32 v58, s0, 19
	s_or_b32 s0, s19, s17
	s_delay_alu instid0(SALU_CYCLE_1) | instskip(NEXT) | instid1(VALU_DEP_1)
	v_writelane_b32 v58, s0, 20
	v_readlane_b32 s0, v58, 21
	v_readlane_b32 s17, v58, 22
	s_and_not1_b32 s0, s0, exec_lo
	s_and_not1_b32 s17, s17, exec_lo
	s_or_b32 s0, s0, s16
	s_delay_alu instid0(SALU_CYCLE_1) | instskip(SKIP_1) | instid1(SALU_CYCLE_1)
	v_writelane_b32 v58, s0, 21
	s_or_b32 s0, s17, s15
	v_writelane_b32 v58, s0, 22
	s_delay_alu instid0(VALU_DEP_1) | instskip(SKIP_4) | instid1(SALU_CYCLE_1)
	v_readlane_b32 s0, v58, 23
	v_readlane_b32 s15, v58, 24
	s_and_not1_b32 s0, s0, exec_lo
	s_and_not1_b32 s15, s15, exec_lo
	s_or_b32 s0, s0, s14
	v_writelane_b32 v58, s0, 23
	s_or_b32 s0, s15, s13
	s_and_not1_b32 s13, s83, exec_lo
	s_delay_alu instid0(SALU_CYCLE_1)
	s_or_b32 s83, s13, s11
	v_writelane_b32 v58, s0, 24
	s_and_not1_b32 s0, s82, exec_lo
	s_and_not1_b32 s11, s87, exec_lo
	s_or_b32 s82, s0, s12
	s_and_not1_b32 s0, s86, exec_lo
	s_or_b32 s87, s11, s9
	s_or_b32 s86, s0, s10
	s_and_not1_b32 s0, s84, exec_lo
	s_and_not1_b32 s9, s85, exec_lo
	s_or_b32 s84, s0, s8
	s_or_b32 s85, s9, s7
	s_and_not1_b32 s0, s96, exec_lo
	;; [unrolled: 4-line block ×4, first 2 shown]
	s_and_not1_b32 s3, s101, exec_lo
	s_or_b32 s100, s0, s1
	s_or_b32 s101, s3, s2
	s_and_not1_b32 exec_lo, exec_lo, s102
	s_cbranch_execz .LBB7_273
.LBB7_15:                               ; =>This Loop Header: Depth=1
                                        ;     Child Loop BB7_21 Depth 2
                                        ;     Child Loop BB7_39 Depth 2
	;; [unrolled: 1-line block ×7, first 2 shown]
                                        ;       Child Loop BB7_104 Depth 3
                                        ;     Child Loop BB7_126 Depth 2
                                        ;     Child Loop BB7_130 Depth 2
	;; [unrolled: 1-line block ×9, first 2 shown]
                                        ;       Child Loop BB7_218 Depth 3
                                        ;     Child Loop BB7_255 Depth 2
	v_readlane_b32 s0, v59, 5
	v_readlane_b32 s1, v59, 6
	;; [unrolled: 1-line block ×6, first 2 shown]
	global_load_b32 v44, v104, s[0:1] scale_offset
	s_wait_xcnt 0x0
	v_readlane_b32 s0, v59, 21
	v_dual_mov_b32 v0, 0 :: v_dual_ashrrev_i32 v105, 31, v104
	v_readlane_b32 s1, v59, 22
	v_readlane_b32 s2, v59, 7
	;; [unrolled: 1-line block ×3, first 2 shown]
	s_wait_loadcnt 0x0
	s_clause 0x1
	global_load_b32 v40, v44, s[4:5] scale_offset
	global_load_b32 v45, v44, s[6:7] scale_offset
	v_lshl_add_u64 v[2:3], v[104:105], 2, s[0:1]
	s_mov_b32 s0, exec_lo
	s_wait_xcnt 0x0
	v_cmpx_ne_u32_e32 0, v104
	s_cbranch_execz .LBB7_17
; %bb.16:                               ;   in Loop: Header=BB7_15 Depth=1
	global_load_b32 v0, v[2:3], off offset:-4
.LBB7_17:                               ;   in Loop: Header=BB7_15 Depth=1
	s_wait_xcnt 0x0
	s_or_b32 exec_lo, exec_lo, s0
	global_load_b32 v1, v[2:3], off
	s_wait_loadcnt 0x2
	s_wait_xcnt 0x0
	v_add_nc_u32_e32 v2, -5, v40
	v_cmp_lt_i32_e32 vcc_lo, 5, v40
	s_mov_b32 s0, -1
	s_mov_b32 s1, 0
	s_and_not1_b32 s104, s104, exec_lo
	v_lshlrev_b32_e64 v2, v2, 1
	s_mov_b32 s2, -1
	s_mov_b32 s3, 0
	s_mov_b32 s4, 0
	;; [unrolled: 1-line block ×3, first 2 shown]
	v_cndmask_b32_e32 v56, 1, v2, vcc_lo
	s_mov_b32 s6, 0
	s_mov_b32 s7, 0
	;; [unrolled: 1-line block ×23, first 2 shown]
	s_mov_b32 s30, exec_lo
	s_wait_loadcnt 0x0
	v_sub_nc_u32_e32 v1, v1, v0
	s_delay_alu instid0(VALU_DEP_1)
	v_cmpx_eq_u32_e64 v1, v56
	s_cbranch_execz .LBB7_14
; %bb.18:                               ;   in Loop: Header=BB7_15 Depth=1
	scratch_load_b32 v1, off, off offset:4160
	v_writelane_b32 v58, s30, 8
	s_wait_loadcnt 0x0
	v_cmp_lt_i32_e32 vcc_lo, -1, v1
	s_wait_xcnt 0x0
	s_mov_b32 s29, exec_lo
	s_delay_alu instid0(SALU_CYCLE_1) | instskip(SKIP_1) | instid1(SALU_CYCLE_1)
	v_writelane_b32 v58, s29, 9
	s_and_b32 s29, s29, vcc_lo
	s_mov_b32 exec_lo, s29
	s_cbranch_execz .LBB7_13
; %bb.19:                               ;   in Loop: Header=BB7_15 Depth=1
	v_readlane_b32 s0, v59, 23
	v_dual_mov_b32 v4, v40 :: v_dual_ashrrev_i32 v1, 31, v0
	v_readlane_b32 s2, v59, 25
	v_readlane_b32 s3, v59, 26
	v_writelane_b32 v58, s42, 25
	v_readlane_b32 s1, v59, 24
	s_get_pc_i64 s[0:1]
	s_add_nc_u64 s[0:1], s[0:1], _ZN3sop13minatoIsopRecEPKjS1_iPNS_3SopEP7VecsMemIjLi8192EE@rel64+4
	v_dual_mov_b32 v7, v108 :: v_dual_mov_b32 v8, v109
	v_lshl_add_u64 v[92:93], v[0:1], 2, s[2:3]
	v_dual_mov_b32 v5, v122 :: v_dual_mov_b32 v6, v123
	v_writelane_b32 v58, s0, 26
	s_mov_b64 s[8:9], s[50:51]
	s_delay_alu instid0(VALU_DEP_3)
	v_dual_mov_b32 v0, v92 :: v_dual_mov_b32 v1, v93
	v_dual_mov_b32 v2, v92 :: v_dual_mov_b32 v3, v93
	scratch_store_b32 off, v95, off offset:4160
	v_writelane_b32 v58, s1, 27
	s_swap_pc_i64 s[30:31], s[0:1]
	v_mov_b32_e32 v94, v56
	s_mov_b32 s0, 0
                                        ; implicit-def: $sgpr28
                                        ; implicit-def: $sgpr2
                                        ; implicit-def: $sgpr1
	s_branch .LBB7_21
.LBB7_20:                               ;   in Loop: Header=BB7_21 Depth=2
	s_wait_xcnt 0x0
	s_or_b32 exec_lo, exec_lo, s3
	s_delay_alu instid0(SALU_CYCLE_1) | instskip(NEXT) | instid1(SALU_CYCLE_1)
	s_and_b32 s3, exec_lo, s2
	s_or_b32 s0, s3, s0
	s_and_not1_b32 s3, s28, exec_lo
	s_and_b32 s4, s1, exec_lo
	s_delay_alu instid0(SALU_CYCLE_1)
	s_or_b32 s28, s3, s4
	s_and_not1_b32 exec_lo, exec_lo, s0
	s_cbranch_execz .LBB7_23
.LBB7_21:                               ;   Parent Loop BB7_15 Depth=1
                                        ; =>  This Inner Loop Header: Depth=2
	s_or_b32 s1, s1, exec_lo
	s_or_b32 s2, s2, exec_lo
	s_mov_b32 s3, exec_lo
	s_wait_xcnt 0x0
	v_cmpx_lt_i32_e32 0, v94
	s_cbranch_execz .LBB7_20
; %bb.22:                               ;   in Loop: Header=BB7_21 Depth=2
	v_add_nc_u32_e32 v94, -1, v94
	s_and_not1_b32 s2, s2, exec_lo
	s_and_not1_b32 s1, s1, exec_lo
	s_delay_alu instid0(VALU_DEP_1) | instskip(NEXT) | instid1(VALU_DEP_1)
	v_lshlrev_b64_e32 v[2:3], 2, v[94:95]
	v_add_nc_u64_e32 v[4:5], v[92:93], v[2:3]
	v_add_nc_u64_e32 v[2:3], v[0:1], v[2:3]
	global_load_b32 v4, v[4:5], off
	flat_load_b32 v2, v[2:3]
	s_wait_loadcnt_dscnt 0x0
	v_cmp_ne_u32_e32 vcc_lo, v4, v2
	s_and_b32 s4, vcc_lo, exec_lo
	s_delay_alu instid0(SALU_CYCLE_1)
	s_or_b32 s2, s2, s4
	s_branch .LBB7_20
.LBB7_23:                               ;   in Loop: Header=BB7_15 Depth=1
	s_or_b32 exec_lo, exec_lo, s0
	s_mov_b32 s0, -1
	s_mov_b32 s1, 0
	s_mov_b32 s2, 0
	s_mov_b32 s3, 0
	s_mov_b32 s4, 0
	s_mov_b32 s5, 0
	s_mov_b32 s6, 0
	s_mov_b32 s7, 0
	s_mov_b32 s8, 0
	s_mov_b32 s9, 0
	s_mov_b32 s10, 0
	s_mov_b32 s11, 0
	s_mov_b32 s12, 0
	s_mov_b32 s13, 0
	s_mov_b32 s14, 0
	s_mov_b32 s15, 0
	s_mov_b32 s16, 0
	s_mov_b32 s17, 0
	s_mov_b32 s18, 0
	s_mov_b32 s19, 0
	s_mov_b32 s20, 0
	s_mov_b32 s21, 0
	s_mov_b32 s22, 0
	s_mov_b32 s23, 0
	s_mov_b32 s24, 0
	s_mov_b32 s25, 0
	s_mov_b32 s26, 0
	s_mov_b32 s27, 0
	s_and_saveexec_b32 s29, s28
	v_readlane_b32 s50, v58, 6
	v_readlane_b32 s51, v58, 7
	;; [unrolled: 1-line block ×3, first 2 shown]
	s_xor_b32 s43, exec_lo, s29
	s_cbranch_execz .LBB7_12
; %bb.24:                               ;   in Loop: Header=BB7_15 Depth=1
	scratch_load_b32 v2, off, off offset:4116
	s_mov_b32 s0, 0
	s_mov_b32 s1, exec_lo
	s_wait_loadcnt 0x0
	s_wait_xcnt 0x0
	v_cmpx_lt_i32_e32 0, v2
	s_xor_b32 s1, exec_lo, s1
	s_cbranch_execz .LBB7_28
; %bb.25:                               ;   in Loop: Header=BB7_15 Depth=1
	s_mov_b32 s2, -1
	s_mov_b32 s4, exec_lo
	v_cmpx_eq_u32_e32 1, v2
	s_cbranch_execz .LBB7_27
; %bb.26:                               ;   in Loop: Header=BB7_15 Depth=1
	scratch_load_b64 v[0:1], off, off offset:4120
	s_wait_loadcnt 0x0
	flat_load_b32 v0, v[0:1]
	s_wait_loadcnt_dscnt 0x0
	v_cmp_eq_u32_e32 vcc_lo, 0, v0
	v_cmp_ne_u32_e64 s0, 0, v0
	s_and_b32 s3, vcc_lo, exec_lo
	s_or_not1_b32 s2, s0, exec_lo
.LBB7_27:                               ;   in Loop: Header=BB7_15 Depth=1
	s_wait_xcnt 0x0
	s_or_b32 exec_lo, exec_lo, s4
	s_delay_alu instid0(SALU_CYCLE_1)
	s_and_b32 s0, s3, exec_lo
	s_and_b32 s2, s2, exec_lo
.LBB7_28:                               ;   in Loop: Header=BB7_15 Depth=1
	s_and_not1_saveexec_b32 s1, s1
; %bb.29:                               ;   in Loop: Header=BB7_15 Depth=1
	v_cmp_ne_u32_e32 vcc_lo, 0, v2
	s_and_not1_b32 s2, s2, exec_lo
	s_or_b32 s0, s0, exec_lo
	s_and_b32 s3, vcc_lo, exec_lo
	s_delay_alu instid0(SALU_CYCLE_1)
	s_or_b32 s2, s2, s3
; %bb.30:                               ;   in Loop: Header=BB7_15 Depth=1
	s_or_b32 exec_lo, exec_lo, s1
	s_mov_b32 s1, 0
	s_delay_alu instid0(SALU_CYCLE_1)
	v_writelane_b32 v58, s1, 28
	v_writelane_b32 v58, s1, 31
	;; [unrolled: 1-line block ×4, first 2 shown]
	s_and_saveexec_b32 s1, s2
	s_cbranch_execz .LBB7_45
; %bb.31:                               ;   in Loop: Header=BB7_15 Depth=1
	v_mov_b32_e32 v3, -1
	s_mov_b32 s6, -1
	s_mov_b32 s4, 0
	s_mov_b32 s2, 0
	s_mov_b32 s3, exec_lo
	v_cmpx_lt_i32_e32 0, v2
	s_cbranch_execz .LBB7_35
; %bb.32:                               ;   in Loop: Header=BB7_15 Depth=1
	scratch_load_b32 v1, off, off offset:4160
	s_mov_b32 s2, exec_lo
	s_wait_loadcnt 0x0
	v_dual_mov_b32 v3, -1 :: v_dual_add_nc_u32 v0, v1, v2
	s_wait_xcnt 0x0
	s_delay_alu instid0(VALU_DEP_1)
	v_cmpx_gt_i32_e32 0x2001, v0
	s_cbranch_execz .LBB7_34
; %bb.33:                               ;   in Loop: Header=BB7_15 Depth=1
	v_lshlrev_b32_e32 v1, 2, v1
	s_mov_b32 s5, exec_lo
	scratch_store_b32 off, v0, off offset:4160
	v_add3_u32 v3, 0x1040, v1, 4
.LBB7_34:                               ;   in Loop: Header=BB7_15 Depth=1
	s_wait_xcnt 0x0
	s_or_b32 exec_lo, exec_lo, s2
	s_delay_alu instid0(SALU_CYCLE_1)
	s_mov_b32 s2, exec_lo
	s_or_not1_b32 s6, s5, exec_lo
.LBB7_35:                               ;   in Loop: Header=BB7_15 Depth=1
	s_or_b32 exec_lo, exec_lo, s3
	s_mov_b32 s5, 0
	s_and_saveexec_b32 s3, s6
	s_cbranch_execz .LBB7_44
; %bb.36:                               ;   in Loop: Header=BB7_15 Depth=1
	s_mov_b32 s5, -1
	s_mov_b32 s6, 0
	s_mov_b32 s4, exec_lo
	v_cmpx_ne_u32_e32 -1, v3
	s_cbranch_execz .LBB7_43
; %bb.37:                               ;   in Loop: Header=BB7_15 Depth=1
	s_mov_b32 s5, exec_lo
	v_cmpx_lt_i32_e32 0, v2
	s_cbranch_execz .LBB7_42
; %bb.38:                               ;   in Loop: Header=BB7_15 Depth=1
	scratch_load_b64 v[0:1], off, off offset:4120
	v_dual_mov_b32 v4, v2 :: v_dual_mov_b32 v5, v3
.LBB7_39:                               ;   Parent Loop BB7_15 Depth=1
                                        ; =>  This Inner Loop Header: Depth=2
	s_wait_loadcnt 0x0
	flat_load_b32 v6, v[0:1]
	v_add_nc_u32_e32 v4, -1, v4
	s_wait_xcnt 0x0
	v_add_nc_u64_e32 v[0:1], 4, v[0:1]
	s_wait_loadcnt_dscnt 0x0
	scratch_store_b32 v5, v6, off
	s_wait_xcnt 0x0
	v_add_nc_u32_e32 v5, 4, v5
	v_cmp_eq_u32_e32 vcc_lo, 0, v4
	s_or_b32 s6, vcc_lo, s6
	s_delay_alu instid0(SALU_CYCLE_1)
	s_and_not1_b32 exec_lo, exec_lo, s6
	s_cbranch_execnz .LBB7_39
; %bb.40:                               ;   in Loop: Header=BB7_15 Depth=1
	s_or_b32 exec_lo, exec_lo, s6
	v_mov_b32_e32 v0, v2
	v_readlane_b32 s7, v59, 29
	s_mov_b32 s6, 0
.LBB7_41:                               ;   Parent Loop BB7_15 Depth=1
                                        ; =>  This Inner Loop Header: Depth=2
	scratch_load_b32 v1, v3, off
	s_wait_xcnt 0x0
	v_dual_add_nc_u32 v0, -1, v0 :: v_dual_add_nc_u32 v3, 4, v3
	s_delay_alu instid0(VALU_DEP_1)
	v_cmp_eq_u32_e32 vcc_lo, 0, v0
	s_wait_loadcnt 0x0
	scratch_store_b32 off, v1, s7
	s_wait_xcnt 0x0
	s_add_co_i32 s7, s7, 4
	s_or_b32 s6, vcc_lo, s6
	s_delay_alu instid0(SALU_CYCLE_1)
	s_and_not1_b32 exec_lo, exec_lo, s6
	s_cbranch_execnz .LBB7_41
.LBB7_42:                               ;   in Loop: Header=BB7_15 Depth=1
	s_or_b32 exec_lo, exec_lo, s5
	scratch_load_b32 v0, off, off offset:4160
	s_mov_b32 s7, exec_lo
	s_xor_b32 s5, exec_lo, -1
	s_wait_loadcnt 0x0
	v_cmp_ge_i32_e32 vcc_lo, v0, v2
	s_and_b32 s6, vcc_lo, exec_lo
.LBB7_43:                               ;   in Loop: Header=BB7_15 Depth=1
	s_wait_xcnt 0x0
	s_or_b32 exec_lo, exec_lo, s4
	s_delay_alu instid0(SALU_CYCLE_1)
	s_and_b32 s7, s7, exec_lo
	s_and_b32 s5, s5, exec_lo
	s_and_not1_b32 s2, s2, exec_lo
	s_and_b32 s4, s6, exec_lo
.LBB7_44:                               ;   in Loop: Header=BB7_15 Depth=1
	s_or_b32 exec_lo, exec_lo, s3
	s_delay_alu instid0(SALU_CYCLE_1)
	s_and_b32 s3, s7, exec_lo
	s_and_b32 s2, s2, exec_lo
	v_writelane_b32 v58, s3, 29
	s_and_b32 s3, s5, exec_lo
	s_and_b32 s18, s4, exec_lo
	s_and_not1_b32 s0, s0, exec_lo
	v_writelane_b32 v58, s3, 30
	v_writelane_b32 v58, s2, 31
.LBB7_45:                               ;   in Loop: Header=BB7_15 Depth=1
	s_or_b32 exec_lo, exec_lo, s1
	s_and_saveexec_b32 s1, s0
	s_cbranch_execz .LBB7_47
; %bb.46:                               ;   in Loop: Header=BB7_15 Depth=1
	scratch_load_b32 v0, off, off offset:4160
	s_mov_b32 s0, exec_lo
	scratch_store_b32 off, v95, off offset:4164
	v_writelane_b32 v58, s0, 28
	s_delay_alu instid0(VALU_DEP_1) | instskip(SKIP_1) | instid1(SALU_CYCLE_1)
	v_readlane_b32 s0, v58, 29
	s_and_not1_b32 s0, s0, exec_lo
	v_writelane_b32 v58, s0, 29
	s_delay_alu instid0(VALU_DEP_1) | instskip(SKIP_1) | instid1(SALU_CYCLE_1)
	v_readlane_b32 s0, v58, 30
	s_and_not1_b32 s0, s0, exec_lo
	v_writelane_b32 v58, s0, 30
	s_and_not1_b32 s0, s18, exec_lo
	s_delay_alu instid0(VALU_DEP_1) | instskip(SKIP_1) | instid1(SALU_CYCLE_1)
	v_readlane_b32 s3, v58, 31
	s_and_not1_b32 s3, s3, exec_lo
	v_writelane_b32 v58, s3, 31
	s_wait_loadcnt 0x0
	v_cmp_ge_i32_e32 vcc_lo, v0, v2
	s_and_b32 s2, vcc_lo, exec_lo
	s_delay_alu instid0(SALU_CYCLE_1)
	s_or_b32 s18, s0, s2
.LBB7_47:                               ;   in Loop: Header=BB7_15 Depth=1
	s_wait_xcnt 0x0
	s_or_b32 exec_lo, exec_lo, s1
	s_mov_b32 s0, -1
	s_mov_b32 s1, 0
	s_mov_b32 s2, 0
	;; [unrolled: 1-line block ×23, first 2 shown]
	s_and_saveexec_b32 s25, s18
	s_cbranch_execz .LBB7_11
; %bb.48:                               ;   in Loop: Header=BB7_15 Depth=1
	s_mov_b32 s18, -1
                                        ; implicit-def: $vgpr57 : SGPR spill to VGPR lane
	v_cmp_gt_i32_e32 vcc_lo, 16, v40
	v_writelane_b32 v57, s25, 0
	scratch_store_b32 off, v2, off offset:4160
	s_wait_xcnt 0x0
	s_mov_b32 s2, exec_lo
	s_delay_alu instid0(SALU_CYCLE_1) | instskip(SKIP_1) | instid1(SALU_CYCLE_1)
	v_writelane_b32 v57, s2, 1
	s_and_b32 s2, s2, vcc_lo
	s_mov_b32 exec_lo, s2
	s_cbranch_execz .LBB7_10
; %bb.49:                               ;   in Loop: Header=BB7_15 Depth=1
	s_mov_b32 s0, 0
	s_mov_b32 s81, 0
	s_mov_b32 s1, exec_lo
	scratch_store_b32 off, v40, off offset:36936
                                        ; implicit-def: $vgpr6
	s_wait_xcnt 0x0
	v_cmpx_lt_i32_e32 0, v2
	s_xor_b32 s1, exec_lo, s1
	s_cbranch_execz .LBB7_55
; %bb.50:                               ;   in Loop: Header=BB7_15 Depth=1
	s_mov_b32 s0, -1
	s_mov_b32 s2, exec_lo
                                        ; implicit-def: $vgpr6
	v_cmpx_eq_u32_e32 1, v2
	s_cbranch_execz .LBB7_54
; %bb.51:                               ;   in Loop: Header=BB7_15 Depth=1
	scratch_load_b32 v0, off, off offset:4164
                                        ; implicit-def: $vgpr6
	s_wait_loadcnt 0x0
	v_cmp_eq_u32_e64 s0, 0, v0
	v_cmp_ne_u32_e32 vcc_lo, 0, v0
	s_wait_xcnt 0x0
	s_and_saveexec_b32 s4, s0
	s_delay_alu instid0(SALU_CYCLE_1)
	s_xor_b32 s0, exec_lo, s4
	s_cbranch_execz .LBB7_53
; %bb.52:                               ;   in Loop: Header=BB7_15 Depth=1
	v_mov_b64_e32 v[0:1], 0
	v_add_nc_u32_e32 v6, 1, v40
	s_mov_b32 s3, exec_lo
	scratch_store_b32 off, v6, off offset:36936
	scratch_store_b64 v40, v[0:1], off offset:36944 scale_offset
.LBB7_53:                               ;   in Loop: Header=BB7_15 Depth=1
	s_wait_xcnt 0x0
	s_or_b32 exec_lo, exec_lo, s0
	s_delay_alu instid0(SALU_CYCLE_1)
	s_and_b32 s3, s3, exec_lo
	s_or_not1_b32 s0, vcc_lo, exec_lo
.LBB7_54:                               ;   in Loop: Header=BB7_15 Depth=1
	s_or_b32 exec_lo, exec_lo, s2
	s_delay_alu instid0(SALU_CYCLE_1)
	s_and_b32 s81, s3, exec_lo
	s_and_b32 s0, s0, exec_lo
.LBB7_55:                               ;   in Loop: Header=BB7_15 Depth=1
	s_and_not1_saveexec_b32 s1, s1
; %bb.56:                               ;   in Loop: Header=BB7_15 Depth=1
	v_cmp_ne_u32_e32 vcc_lo, 0, v2
	s_and_not1_b32 s0, s0, exec_lo
	s_mov_b32 s12, exec_lo
	s_and_b32 s2, vcc_lo, exec_lo
	s_delay_alu instid0(SALU_CYCLE_1)
	s_or_b32 s0, s0, s2
; %bb.57:                               ;   in Loop: Header=BB7_15 Depth=1
	s_or_b32 exec_lo, exec_lo, s1
	s_mov_b32 s1, -1
	v_dual_lshlrev_b32 v78, 4, v44 :: v_dual_mov_b32 v46, v6
	v_writelane_b32 v57, s1, 2
	s_mov_b32 s1, 0
	v_readlane_b32 s4, v59, 5
	s_delay_alu instid0(VALU_DEP_3)
	v_ashrrev_i32_e32 v79, 31, v78
	v_readlane_b32 s6, v59, 7
	v_readlane_b32 s7, v59, 8
	v_writelane_b32 v57, s1, 3
	v_readlane_b32 s5, v59, 6
	v_readlane_b32 s8, v59, 9
	;; [unrolled: 1-line block ×3, first 2 shown]
	v_lshl_add_u64 v[120:121], v[78:79], 2, s[6:7]
	v_writelane_b32 v57, s1, 4
	v_readlane_b32 s10, v59, 11
	v_readlane_b32 s11, v59, 12
	v_writelane_b32 v57, s1, 5
	s_and_saveexec_b32 s80, s0
	s_cbranch_execz .LBB7_77
; %bb.58:                               ;   in Loop: Header=BB7_15 Depth=1
	v_mov_b32_e32 v106, -1
	s_mov_b32 s2, -1
	s_mov_b32 s6, -1
	s_mov_b32 s7, 0
	s_mov_b32 s0, exec_lo
	scratch_store_b32 off, v95, off offset:4148
	s_wait_xcnt 0x0
	v_cmpx_lt_i32_e32 0, v2
	s_cbranch_execz .LBB7_62
; %bb.59:                               ;   in Loop: Header=BB7_15 Depth=1
	v_mov_b32_e32 v106, -1
	s_mov_b32 s2, 0
	s_mov_b32 s3, exec_lo
	v_cmpx_gt_u32_e32 0x1001, v2
	s_cbranch_execz .LBB7_61
; %bb.60:                               ;   in Loop: Header=BB7_15 Depth=1
	v_lshl_add_u32 v0, v2, 3, 0x1040
	v_lshlrev_b32_e32 v1, 2, v2
	s_mov_b32 s2, exec_lo
	s_delay_alu instid0(VALU_DEP_1) | instskip(NEXT) | instid1(VALU_DEP_1)
	v_dual_sub_nc_u32 v0, v0, v1 :: v_dual_lshlrev_b32 v1, 1, v2
	v_add_nc_u32_e32 v106, 4, v0
	scratch_store_b32 off, v1, off offset:4160
.LBB7_61:                               ;   in Loop: Header=BB7_15 Depth=1
	s_wait_xcnt 0x0
	s_or_b32 exec_lo, exec_lo, s3
	s_delay_alu instid0(SALU_CYCLE_1)
	s_mov_b32 s7, exec_lo
	s_xor_b32 s6, exec_lo, -1
	s_or_not1_b32 s2, s2, exec_lo
.LBB7_62:                               ;   in Loop: Header=BB7_15 Depth=1
	s_or_b32 exec_lo, exec_lo, s0
	s_mov_b32 s0, s81
	s_mov_b32 s4, 0
                                        ; implicit-def: $vgpr6
                                        ; implicit-def: $vgpr46
	s_and_saveexec_b32 s9, s2
	s_cbranch_execz .LBB7_76
; %bb.63:                               ;   in Loop: Header=BB7_15 Depth=1
	v_add_nc_u64_e32 v[0:1], src_flat_scratch_base_lo, v[106:107]
	v_cmp_ne_u32_e32 vcc_lo, -1, v106
	s_mov_b32 s0, exec_lo
	s_delay_alu instid0(VALU_DEP_2)
	v_dual_cndmask_b32 v1, 0, v1 :: v_dual_cndmask_b32 v0, 0, v0
	scratch_store_b64 off, v[0:1], off offset:4152
	s_wait_xcnt 0x0
	v_cmpx_lt_i32_e32 0, v2
	s_cbranch_execz .LBB7_67
; %bb.64:                               ;   in Loop: Header=BB7_15 Depth=1
	v_mov_b32_e32 v0, v2
	v_readlane_b32 s2, v59, 29
.LBB7_65:                               ;   Parent Loop BB7_15 Depth=1
                                        ; =>  This Inner Loop Header: Depth=2
	scratch_load_b32 v1, off, s2
	s_wait_xcnt 0x0
	s_add_co_i32 s2, s2, 4
	v_add_nc_u32_e32 v0, -1, v0
	s_delay_alu instid0(VALU_DEP_1) | instskip(SKIP_3) | instid1(VALU_DEP_1)
	v_cmp_eq_u32_e32 vcc_lo, 0, v0
	s_or_b32 s1, vcc_lo, s1
	s_wait_loadcnt 0x0
	v_lshrrev_b32_e32 v3, 1, v1
	v_bitop3_b32 v3, v3, 0x55555555, v1 bitop3:0xc8
	s_delay_alu instid0(VALU_DEP_1) | instskip(NEXT) | instid1(VALU_DEP_1)
	v_lshl_add_u32 v3, v3, 1, v3
	v_xor_b32_e32 v1, v3, v1
	scratch_store_b32 v106, v1, off
	s_wait_xcnt 0x0
	v_add_nc_u32_e32 v106, 4, v106
	s_and_not1_b32 exec_lo, exec_lo, s1
	s_cbranch_execnz .LBB7_65
; %bb.66:                               ;   in Loop: Header=BB7_15 Depth=1
	s_or_b32 exec_lo, exec_lo, s1
	scratch_store_b32 off, v2, off offset:4148
.LBB7_67:                               ;   in Loop: Header=BB7_15 Depth=1
	v_writelane_b32 v57, s9, 5
	v_writelane_b32 v57, s6, 3
	;; [unrolled: 1-line block ×5, first 2 shown]
	s_wait_xcnt 0x0
	s_or_b32 exec_lo, exec_lo, s0
	v_dual_lshlrev_b32 v2, 1, v40 :: v_dual_mov_b32 v0, v74
	v_dual_mov_b32 v1, v75 :: v_dual_mov_b32 v3, v108
	v_dual_mov_b32 v4, v109 :: v_dual_mov_b32 v5, v110
	v_mov_b32_e32 v6, v111
	s_get_pc_i64 s[0:1]
	s_add_nc_u64 s[0:1], s[0:1], _ZN3sop12sopFactorRecEPNS_3SopEiP7VecsMemIjLi8192EEPN8subgUtil4SubgILi256EEE@rel64+4
	s_mov_b64 s[8:9], s[50:51]
	s_swap_pc_i64 s[30:31], s[0:1]
	scratch_load_b32 v6, off, off offset:36936
	v_ashrrev_i32_e32 v2, 1, v0
	s_mov_b32 s0, s81
	s_mov_b32 s1, exec_lo
                                        ; implicit-def: $vgpr46
	s_wait_xcnt 0x0
	s_delay_alu instid0(VALU_DEP_1)
	v_cmpx_ge_i32_e64 v2, v40
	s_xor_b32 s1, exec_lo, s1
; %bb.68:                               ;   in Loop: Header=BB7_15 Depth=1
	v_add_nc_u32_e32 v46, 1, v40
	s_or_b32 s0, s81, exec_lo
                                        ; implicit-def: $vgpr2
                                        ; implicit-def: $vgpr0
; %bb.69:                               ;   in Loop: Header=BB7_15 Depth=1
	s_or_saveexec_b32 s1, s1
	v_readlane_b32 s8, v57, 3
	v_readlane_b32 s7, v57, 4
	;; [unrolled: 1-line block ×8, first 2 shown]
	s_mov_b32 s2, 0
	s_mov_b32 s6, s8
	;; [unrolled: 1-line block ×4, first 2 shown]
	s_xor_b32 exec_lo, exec_lo, s1
	s_cbranch_execz .LBB7_75
; %bb.70:                               ;   in Loop: Header=BB7_15 Depth=1
	s_wait_loadcnt 0x0
	v_cmp_eq_u32_e32 vcc_lo, v6, v40
	s_mov_b32 s6, -1
	s_mov_b32 s3, 0
	s_mov_b32 s4, s0
                                        ; implicit-def: $vgpr6
	s_and_saveexec_b32 s2, vcc_lo
	s_cbranch_execz .LBB7_74
; %bb.71:                               ;   in Loop: Header=BB7_15 Depth=1
	v_ashrrev_i32_e32 v3, 31, v2
	s_mov_b32 s4, s0
	s_mov_b32 s3, exec_lo
                                        ; implicit-def: $vgpr6
	s_delay_alu instid0(VALU_DEP_1) | instskip(SKIP_4) | instid1(VALU_DEP_1)
	v_lshl_add_u64 v[2:3], v[2:3], 2, v[120:121]
	global_load_b32 v1, v[2:3], off
	s_wait_loadcnt 0x0
	v_lshlrev_b32_e32 v1, 1, v1
	s_wait_xcnt 0x0
	v_cmpx_lt_i32_e32 -1, v1
	s_xor_b32 s3, exec_lo, s3
	s_cbranch_execz .LBB7_73
; %bb.72:                               ;   in Loop: Header=BB7_15 Depth=1
	v_and_b32_e32 v0, 1, v0
	v_add_nc_u32_e32 v6, 1, v40
	s_or_b32 s4, s0, exec_lo
	s_delay_alu instid0(VALU_DEP_2) | instskip(NEXT) | instid1(VALU_DEP_1)
	v_or_b32_e32 v1, v1, v0
	v_lshl_or_b32 v0, v1, 1, v0
	scratch_store_b32 off, v6, off offset:36936
	scratch_store_b64 v40, v[0:1], off offset:36944 scale_offset
.LBB7_73:                               ;   in Loop: Header=BB7_15 Depth=1
	s_wait_xcnt 0x0
	s_or_b32 exec_lo, exec_lo, s3
	s_delay_alu instid0(SALU_CYCLE_1)
	s_and_not1_b32 s5, s0, exec_lo
	s_and_b32 s4, s4, exec_lo
	s_mov_b32 s3, exec_lo
	s_xor_b32 s6, exec_lo, -1
	s_or_b32 s4, s5, s4
.LBB7_74:                               ;   in Loop: Header=BB7_15 Depth=1
	s_or_b32 exec_lo, exec_lo, s2
	v_mov_b32_e32 v46, v6
	s_and_not1_b32 s0, s0, exec_lo
	s_and_b32 s4, s4, exec_lo
	s_and_b32 s5, s3, exec_lo
	;; [unrolled: 1-line block ×3, first 2 shown]
	s_and_not1_b32 s3, s7, exec_lo
	s_and_not1_b32 s6, s8, exec_lo
	s_or_b32 s0, s0, s4
.LBB7_75:                               ;   in Loop: Header=BB7_15 Depth=1
	s_or_b32 exec_lo, exec_lo, s1
	s_delay_alu instid0(SALU_CYCLE_1)
	s_and_b32 s4, s5, exec_lo
	s_and_not1_b32 s5, s7, exec_lo
	s_and_b32 s3, s3, exec_lo
	s_and_b32 s1, s2, exec_lo
	s_or_b32 s7, s5, s3
	s_and_not1_b32 s2, s8, exec_lo
	s_and_b32 s3, s6, exec_lo
	s_and_not1_b32 s5, s81, exec_lo
	s_and_b32 s0, s0, exec_lo
	s_or_b32 s6, s2, s3
	s_or_b32 s0, s5, s0
.LBB7_76:                               ;   in Loop: Header=BB7_15 Depth=1
	s_or_b32 exec_lo, exec_lo, s9
	s_delay_alu instid0(SALU_CYCLE_1)
	s_and_b32 s2, s4, exec_lo
	s_and_b32 s1, s1, exec_lo
	v_writelane_b32 v57, s2, 5
	s_and_b32 s0, s0, exec_lo
	s_or_not1_b32 s2, s6, exec_lo
	s_and_not1_b32 s12, s12, exec_lo
	v_writelane_b32 v57, s1, 4
	s_and_b32 s1, s7, exec_lo
	s_delay_alu instid0(SALU_CYCLE_1) | instskip(SKIP_1) | instid1(SALU_CYCLE_1)
	v_writelane_b32 v57, s1, 3
	s_and_not1_b32 s1, s81, exec_lo
	s_or_b32 s81, s1, s0
	v_writelane_b32 v57, s2, 2
.LBB7_77:                               ;   in Loop: Header=BB7_15 Depth=1
	s_or_b32 exec_lo, exec_lo, s80
	s_and_saveexec_b32 s0, s12
	s_cbranch_execz .LBB7_79
; %bb.78:                               ;   in Loop: Header=BB7_15 Depth=1
	s_wait_loadcnt 0x0
	v_add_nc_u32_e32 v6, 1, v40
	v_mov_b64_e32 v[0:1], 0x100000003
	s_or_b32 s81, s81, exec_lo
	s_delay_alu instid0(VALU_DEP_2)
	v_mov_b32_e32 v46, v6
	scratch_store_b32 off, v6, off offset:36936
	scratch_store_b64 v40, v[0:1], off offset:36944 scale_offset
.LBB7_79:                               ;   in Loop: Header=BB7_15 Depth=1
	s_wait_xcnt 0x0
	s_or_b32 exec_lo, exec_lo, s0
	s_mov_b32 s2, -1
	s_mov_b32 s0, 0
	s_mov_b32 s1, 0
	;; [unrolled: 1-line block ×19, first 2 shown]
	s_mov_b32 s20, exec_lo
	s_delay_alu instid0(SALU_CYCLE_1) | instskip(SKIP_1) | instid1(SALU_CYCLE_1)
	v_writelane_b32 v57, s20, 7
	s_and_b32 s20, s20, s81
	s_mov_b32 exec_lo, s20
	s_cbranch_execz .LBB7_9
; %bb.80:                               ;   in Loop: Header=BB7_15 Depth=1
	s_wait_loadcnt 0x0
	v_cmp_ne_u32_e64 s0, v6, v46
	s_mov_b32 s2, exec_lo
	v_writelane_b32 v57, s1, 8
	v_cmpx_eq_u32_e64 v6, v46
	s_cbranch_execz .LBB7_82
; %bb.81:                               ;   in Loop: Header=BB7_15 Depth=1
	scratch_load_b64 v[0:1], v40, off offset:36944 scale_offset
	s_and_not1_b32 s0, s0, exec_lo
	s_mov_b32 s1, exec_lo
	s_wait_loadcnt 0x0
	v_lshrrev_b32_e32 v0, 1, v0
	s_delay_alu instid0(VALU_DEP_1) | instskip(SKIP_1) | instid1(SALU_CYCLE_1)
	v_cmp_ne_u32_e32 vcc_lo, v0, v1
	s_and_b32 s3, vcc_lo, exec_lo
	s_or_b32 s0, s0, s3
.LBB7_82:                               ;   in Loop: Header=BB7_15 Depth=1
	s_wait_xcnt 0x0
	s_or_b32 exec_lo, exec_lo, s2
	v_readlane_b32 s2, v57, 2
	v_mov_b32_e32 v47, 0
	s_delay_alu instid0(VALU_DEP_2) | instskip(NEXT) | instid1(VALU_DEP_1)
	v_writelane_b32 v57, s2, 9
	v_readlane_b32 s2, v57, 3
	s_delay_alu instid0(VALU_DEP_1) | instskip(NEXT) | instid1(VALU_DEP_1)
	v_writelane_b32 v57, s2, 10
	v_readlane_b32 s2, v57, 4
	s_delay_alu instid0(VALU_DEP_1) | instskip(NEXT) | instid1(VALU_DEP_1)
	v_writelane_b32 v57, s2, 11
	v_readlane_b32 s2, v57, 5
	s_delay_alu instid0(VALU_DEP_1) | instskip(SKIP_1) | instid1(SALU_CYCLE_1)
	v_writelane_b32 v57, s2, 12
	s_mov_b32 s2, 0
	v_writelane_b32 v57, s2, 13
	s_and_saveexec_b32 s2, s0
	s_cbranch_execz .LBB7_122
; %bb.83:                               ;   in Loop: Header=BB7_15 Depth=1
	s_mov_b32 s0, exec_lo
	v_cmpx_lt_i32_e32 0, v40
	s_cbranch_execz .LBB7_91
; %bb.84:                               ;   in Loop: Header=BB7_15 Depth=1
	v_mov_b32_e32 v94, 0
	s_mov_b32 s4, -1
	s_mov_b32 s3, exec_lo
	v_cmpx_ne_u32_e32 1, v40
	s_cbranch_execz .LBB7_88
; %bb.85:                               ;   in Loop: Header=BB7_15 Depth=1
	v_and_b32_e32 v94, 0x7ffffffe, v40
	v_mov_b64_e32 v[0:1], v[120:121]
	v_readlane_b32 s8, v59, 13
	v_readlane_b32 s9, v59, 14
	s_movk_i32 s4, 0xc10
	v_mov_b32_e32 v2, v94
	s_movk_i32 s6, 0x810
	v_readlane_b32 s10, v59, 15
	v_readlane_b32 s11, v59, 16
	;; [unrolled: 1-line block ×6, first 2 shown]
.LBB7_86:                               ;   Parent Loop BB7_15 Depth=1
                                        ; =>  This Inner Loop Header: Depth=2
	global_load_b64 v[4:5], v[0:1], off
	v_add_nc_u32_e32 v2, -2, v2
	s_wait_xcnt 0x0
	v_add_nc_u64_e32 v[0:1], 8, v[0:1]
	s_wait_loadcnt 0x0
	s_clause 0x1
	global_load_b32 v8, v4, s[8:9] scale_offset
	global_load_b32 v9, v5, s[8:9] scale_offset
	v_cmp_eq_u32_e32 vcc_lo, 0, v2
	scratch_store_b64 off, v[4:5], s6
	s_wait_xcnt 0x0
	s_add_co_i32 s6, s6, 8
	s_wait_loadcnt 0x0
	scratch_store_b64 off, v[8:9], s4
	s_wait_xcnt 0x0
	s_add_co_i32 s4, s4, 8
	s_or_b32 s5, vcc_lo, s5
	s_delay_alu instid0(SALU_CYCLE_1)
	s_and_not1_b32 exec_lo, exec_lo, s5
	s_cbranch_execnz .LBB7_86
; %bb.87:                               ;   in Loop: Header=BB7_15 Depth=1
	s_or_b32 exec_lo, exec_lo, s5
	v_cmp_ne_u32_e32 vcc_lo, v40, v94
	s_or_not1_b32 s4, vcc_lo, exec_lo
.LBB7_88:                               ;   in Loop: Header=BB7_15 Depth=1
	s_or_b32 exec_lo, exec_lo, s3
	v_readlane_b32 s12, v59, 13
	v_readlane_b32 s13, v59, 14
	s_and_b32 s3, exec_lo, s4
	v_readlane_b32 s14, v59, 15
	v_readlane_b32 s15, v59, 16
	;; [unrolled: 1-line block ×6, first 2 shown]
	s_mov_b32 exec_lo, s3
	s_cbranch_execz .LBB7_91
; %bb.89:                               ;   in Loop: Header=BB7_15 Depth=1
	v_lshlrev_b64_e32 v[0:1], 2, v[94:95]
	v_readlane_b32 s4, v59, 5
	v_readlane_b32 s6, v59, 7
	;; [unrolled: 1-line block ×3, first 2 shown]
	v_dual_lshlrev_b32 v4, 2, v94 :: v_dual_sub_nc_u32 v2, v40, v94
	s_mov_b32 s3, 0
	v_lshl_add_u64 v[0:1], v[78:79], 2, v[0:1]
	v_readlane_b32 s5, v59, 6
	s_delay_alu instid0(VALU_DEP_3)
	v_add_nc_u32_e32 v3, 0xc10, v4
	v_add_nc_u32_e32 v4, 0x810, v4
	v_readlane_b32 s8, v59, 9
	v_add_nc_u64_e32 v[0:1], s[6:7], v[0:1]
	v_readlane_b32 s9, v59, 10
	v_readlane_b32 s10, v59, 11
	v_readlane_b32 s11, v59, 12
.LBB7_90:                               ;   Parent Loop BB7_15 Depth=1
                                        ; =>  This Inner Loop Header: Depth=2
	global_load_b32 v5, v[0:1], off
	v_add_nc_u32_e32 v2, -1, v2
	s_wait_xcnt 0x0
	v_add_nc_u64_e32 v[0:1], 4, v[0:1]
	s_wait_loadcnt 0x0
	global_load_b32 v7, v5, s[12:13] scale_offset
	scratch_store_b32 v4, v5, off
	s_wait_xcnt 0x0
	v_add_nc_u32_e32 v4, 4, v4
	v_cmp_eq_u32_e32 vcc_lo, 0, v2
	s_or_b32 s3, vcc_lo, s3
	s_wait_loadcnt 0x0
	scratch_store_b32 v3, v7, off
	s_wait_xcnt 0x0
	v_add_nc_u32_e32 v3, 4, v3
	s_and_not1_b32 exec_lo, exec_lo, s3
	s_cbranch_execnz .LBB7_90
.LBB7_91:                               ;   in Loop: Header=BB7_15 Depth=1
	s_or_b32 exec_lo, exec_lo, s0
	v_mov_b32_e32 v0, 0
	v_readlane_b32 s4, v57, 2
	v_readlane_b32 s5, v57, 3
	;; [unrolled: 1-line block ×4, first 2 shown]
	s_mov_b32 s10, -1
	s_mov_b32 s0, 0
	s_mov_b32 s7, 0
	;; [unrolled: 1-line block ×3, first 2 shown]
	s_mov_b32 s3, exec_lo
	v_cmpx_lt_i32_e64 v40, v6
	s_cbranch_execz .LBB7_119
; %bb.92:                               ;   in Loop: Header=BB7_15 Depth=1
	v_dual_mov_b32 v7, 0 :: v_dual_mov_b32 v8, v40
	s_mov_b32 s8, 0
                                        ; implicit-def: $sgpr7
                                        ; implicit-def: $sgpr6
                                        ; implicit-def: $sgpr4
                                        ; implicit-def: $sgpr5
                                        ; implicit-def: $sgpr11
                                        ; implicit-def: $sgpr9
                                        ; implicit-def: $sgpr10
                                        ; implicit-def: $sgpr12
                                        ; implicit-def: $sgpr13
	s_branch .LBB7_98
.LBB7_93:                               ;   in Loop: Header=BB7_98 Depth=2
	s_or_b32 exec_lo, exec_lo, s23
	s_delay_alu instid0(SALU_CYCLE_1)
	s_and_not1_b32 s16, s16, exec_lo
	s_and_b32 s22, s22, exec_lo
	s_and_not1_b32 s19, s19, exec_lo
	s_or_b32 s16, s16, s22
	s_or_not1_b32 s22, s21, exec_lo
.LBB7_94:                               ;   in Loop: Header=BB7_98 Depth=2
	s_or_b32 exec_lo, exec_lo, s20
	s_delay_alu instid0(SALU_CYCLE_1)
	s_and_not1_b32 s18, s18, exec_lo
	s_and_b32 s16, s16, exec_lo
	s_and_not1_b32 s0, s0, exec_lo
	s_and_b32 s19, s19, exec_lo
	s_or_b32 s18, s18, s16
	s_or_b32 s0, s0, s19
	s_or_not1_b32 s16, s22, exec_lo
.LBB7_95:                               ;   in Loop: Header=BB7_98 Depth=2
	s_or_b32 exec_lo, exec_lo, s17
	s_delay_alu instid0(SALU_CYCLE_1)
	s_and_b32 s17, s18, exec_lo
	s_or_not1_b32 s18, s0, exec_lo
	s_or_not1_b32 s0, s16, exec_lo
.LBB7_96:                               ;   in Loop: Header=BB7_98 Depth=2
	s_or_b32 exec_lo, exec_lo, s15
	s_delay_alu instid0(SALU_CYCLE_1)
	s_and_not1_b32 s13, s13, exec_lo
	s_and_b32 s15, s17, exec_lo
	s_and_not1_b32 s12, s12, exec_lo
	s_and_b32 s16, s18, exec_lo
	;; [unrolled: 2-line block ×3, first 2 shown]
	s_or_b32 s13, s13, s15
	s_or_b32 s12, s12, s16
	s_and_not1_b32 s10, s10, exec_lo
	s_or_b32 s9, s9, exec_lo
	s_or_b32 s11, s11, s0
.LBB7_97:                               ;   in Loop: Header=BB7_98 Depth=2
	s_or_b32 exec_lo, exec_lo, s14
	s_xor_b32 s0, s13, -1
	s_xor_b32 s14, s12, -1
	s_and_b32 s15, exec_lo, s11
	s_delay_alu instid0(SALU_CYCLE_1)
	s_or_b32 s8, s15, s8
	s_and_not1_b32 s5, s5, exec_lo
	s_and_b32 s15, s10, exec_lo
	s_and_not1_b32 s4, s4, exec_lo
	s_and_b32 s16, s9, exec_lo
	;; [unrolled: 2-line block ×4, first 2 shown]
	s_or_b32 s5, s5, s15
	s_or_b32 s4, s4, s16
	;; [unrolled: 1-line block ×4, first 2 shown]
	s_and_not1_b32 exec_lo, exec_lo, s8
	s_cbranch_execz .LBB7_116
.LBB7_98:                               ;   Parent Loop BB7_15 Depth=1
                                        ; =>  This Loop Header: Depth=2
                                        ;       Child Loop BB7_104 Depth 3
	scratch_load_b64 v[0:1], v8, off offset:36944 scale_offset
	s_and_not1_b32 s13, s13, exec_lo
	s_or_b32 s12, s12, exec_lo
	s_or_b32 s10, s10, exec_lo
	s_and_not1_b32 s9, s9, exec_lo
	s_or_b32 s11, s11, exec_lo
	s_mov_b32 s14, exec_lo
	s_wait_loadcnt 0x0
	v_lshrrev_b32_e32 v2, 1, v0
	s_wait_xcnt 0x0
	s_delay_alu instid0(VALU_DEP_1)
	v_cmpx_gt_i32_e64 v2, v1
	s_cbranch_execz .LBB7_97
; %bb.99:                               ;   in Loop: Header=BB7_98 Depth=2
	v_dual_ashrrev_i32 v9, 1, v1 :: v_dual_lshrrev_b32 v10, 2, v0
	s_mov_b32 s0, -1
	s_mov_b32 s17, 0
	s_mov_b32 s18, -1
	s_mov_b32 s15, exec_lo
	v_max_i32_e32 v2, v10, v9
	s_delay_alu instid0(VALU_DEP_1)
	v_cmpx_lt_i32_e64 v2, v8
	s_cbranch_execz .LBB7_96
; %bb.100:                              ;   in Loop: Header=BB7_98 Depth=2
	s_clause 0x1
	scratch_load_b32 v2, v9, off offset:2064 scale_offset
	scratch_load_b32 v3, v10, off offset:2064 scale_offset
	v_mov_b32_e32 v4, -1
	s_mov_b32 s16, -1
	s_mov_b32 s18, 0
	s_mov_b32 s19, -1
	s_wait_loadcnt 0x1
	v_cmp_ne_u32_e32 vcc_lo, -1, v2
	s_wait_loadcnt 0x0
	v_cmp_ne_u32_e64 s0, -1, v3
	s_and_b32 s20, vcc_lo, s0
	s_mov_b32 s0, -1
	s_wait_xcnt 0x0
	s_and_saveexec_b32 s17, s20
	s_cbranch_execz .LBB7_110
; %bb.101:                              ;   in Loop: Header=BB7_98 Depth=2
	v_and_b32_e32 v1, 1, v1
	v_bfe_u32 v0, v0, 1, 1
	v_readlane_b32 s26, v58, 2
	v_readlane_b32 s27, v58, 3
	;; [unrolled: 1-line block ×3, first 2 shown]
	v_lshl_or_b32 v2, v2, 1, v1
	v_lshl_or_b32 v0, v3, 1, v0
	s_cvt_f32_u32 s0, s26
	s_cvt_f32_u32 s18, s27
	v_readlane_b32 s31, v58, 5
	v_readlane_b32 s24, v59, 27
	v_min_i32_e32 v1, v2, v0
	v_max_i32_e32 v0, v2, v0
	s_fmamk_f32 s0, s18, 0x4f800000, s0
	v_readlane_b32 s25, v59, 28
	s_delay_alu instid0(VALU_DEP_3) | instskip(SKIP_2) | instid1(VALU_DEP_3)
	v_dual_mov_b32 v19, v95 :: v_dual_lshrrev_b32 v2, 1, v1
	v_mov_b32_e32 v3, v1
	v_s_rcp_f32 s0, s0
	s_mov_b32 s29, s25
	s_delay_alu instid0(VALU_DEP_2) | instskip(NEXT) | instid1(VALU_DEP_1)
	v_dual_mov_b32 v5, v95 :: v_dual_bitop2_b32 v2, v0, v2 bitop3:0x14
	v_mul_u64_e32 v[2:3], 0xff51afd7ed558ccd, v[2:3]
	s_delay_alu instid0(TRANS32_DEP_1) | instskip(NEXT) | instid1(SALU_CYCLE_3)
	s_mul_f32 s0, s0, 0x5f7ffffc
	s_mul_f32 s18, s0, 0x2f800000
	s_delay_alu instid0(SALU_CYCLE_3) | instskip(NEXT) | instid1(SALU_CYCLE_3)
	s_trunc_f32 s18, s18
	s_fmamk_f32 s0, s18, 0xcf800000, s0
	s_cvt_u32_f32 s19, s18
	s_delay_alu instid0(SALU_CYCLE_2) | instskip(NEXT) | instid1(SALU_CYCLE_3)
	s_cvt_u32_f32 s18, s0
	s_mul_u64 s[20:21], s[30:31], s[18:19]
	s_delay_alu instid0(SALU_CYCLE_1)
	s_mul_hi_u32 s23, s18, s21
	s_mul_i32 s22, s18, s21
	s_mul_hi_u32 s28, s18, s20
	s_mul_i32 s24, s19, s20
	s_add_nc_u64 s[22:23], s[28:29], s[22:23]
	s_mul_hi_u32 s0, s19, s20
	s_mul_hi_u32 s25, s19, s21
	s_mul_i32 s20, s19, s21
	s_add_co_u32 s21, s22, s24
	s_delay_alu instid0(VALU_DEP_1) | instskip(SKIP_2) | instid1(SALU_CYCLE_1)
	v_lshrrev_b32_e32 v4, 1, v3
	s_add_co_ci_u32 s28, s23, s0
	s_add_co_ci_u32 s21, s25, 0
	s_add_nc_u64 s[20:21], s[28:29], s[20:21]
	s_delay_alu instid0(VALU_DEP_1) | instskip(SKIP_2) | instid1(SALU_CYCLE_1)
	v_xor_b32_e32 v2, v4, v2
	s_add_co_u32 s18, s18, s20
	s_cselect_b32 s0, -1, 0
	s_cmp_lg_u32 s0, 0
	s_delay_alu instid0(VALU_DEP_1) | instskip(SKIP_1) | instid1(SALU_CYCLE_1)
	v_mul_u64_e32 v[2:3], 0xc4ceb9fe1a85ec53, v[2:3]
	s_add_co_ci_u32 s19, s19, s21
	s_mul_u64 s[20:21], s[30:31], s[18:19]
	s_delay_alu instid0(SALU_CYCLE_1)
	s_mul_hi_u32 s23, s18, s21
	s_mul_i32 s22, s18, s21
	s_mul_hi_u32 s28, s18, s20
	s_mul_i32 s24, s19, s20
	s_add_nc_u64 s[22:23], s[28:29], s[22:23]
	s_mul_hi_u32 s0, s19, s20
	s_mul_hi_u32 s25, s19, s21
	s_mul_i32 s20, s19, s21
	s_add_co_u32 s21, s22, s24
	s_add_co_ci_u32 s28, s23, s0
	s_add_co_ci_u32 s21, s25, 0
	s_delay_alu instid0(SALU_CYCLE_1) | instskip(NEXT) | instid1(SALU_CYCLE_1)
	s_add_nc_u64 s[20:21], s[28:29], s[20:21]
	s_add_co_u32 s18, s18, s20
	s_cselect_b32 s0, -1, 0
	s_delay_alu instid0(SALU_CYCLE_1)
	s_cmp_lg_u32 s0, 0
	s_add_co_ci_u32 s19, s19, s21
	s_mov_b64 s[20:21], 0xffffffff
	s_mov_b32 s28, s19
	s_and_b64 s[20:21], s[18:19], s[20:21]
	s_mov_b32 s19, s29
	v_writelane_b32 v59, s18, 27
	s_delay_alu instid0(VALU_DEP_2) | instskip(SKIP_1) | instid1(VALU_DEP_2)
	v_dual_lshrrev_b32 v4, 1, v3 :: v_dual_mov_b32 v94, v3
	v_writelane_b32 v59, s19, 28
	v_xor_b32_e32 v4, v4, v2
	s_delay_alu instid0(VALU_DEP_3) | instskip(SKIP_1) | instid1(VALU_DEP_4)
	v_mul_u64_e32 v[14:15], s[20:21], v[94:95]
	v_mul_u64_e32 v[16:17], s[28:29], v[94:95]
	v_readlane_b32 s20, v59, 1
	v_readlane_b32 s21, v59, 2
	v_mul_u64_e32 v[12:13], s[28:29], v[4:5]
	v_mul_hi_u32 v18, v4, s18
	s_mov_b32 s18, -1
	v_readlane_b32 s22, v59, 3
	v_readlane_b32 s23, v59, 4
	s_delay_alu instid0(VALU_DEP_3) | instskip(NEXT) | instid1(VALU_DEP_1)
	v_add_nc_u64_e32 v[12:13], v[18:19], v[12:13]
	v_add_co_u32 v2, vcc_lo, v12, v14
	s_delay_alu instid0(VALU_DEP_2) | instskip(SKIP_1) | instid1(VALU_DEP_1)
	v_add_co_ci_u32_e32 v94, vcc_lo, v13, v15, vcc_lo
	v_add_co_ci_u32_e32 v17, vcc_lo, 0, v17, vcc_lo
	v_add_nc_u64_e32 v[12:13], v[94:95], v[16:17]
	s_delay_alu instid0(VALU_DEP_1) | instskip(NEXT) | instid1(VALU_DEP_1)
	v_mul_u64_e32 v[12:13], s[26:27], v[12:13]
	v_sub_nc_u32_e32 v2, v3, v13
	s_delay_alu instid0(VALU_DEP_2) | instskip(NEXT) | instid1(VALU_DEP_1)
	v_sub_co_u32 v4, vcc_lo, v4, v12
	v_sub_co_ci_u32_e64 v3, null, v3, v13, vcc_lo
	s_delay_alu instid0(VALU_DEP_3) | instskip(NEXT) | instid1(VALU_DEP_3)
	v_subrev_co_ci_u32_e64 v2, null, s27, v2, vcc_lo
	v_sub_co_u32 v5, vcc_lo, v4, s26
	v_cmp_le_u32_e64 s0, s26, v4
	s_delay_alu instid0(VALU_DEP_3) | instskip(SKIP_1) | instid1(VALU_DEP_3)
	v_subrev_co_ci_u32_e64 v11, null, 0, v2, vcc_lo
	v_subrev_co_ci_u32_e64 v2, null, s27, v2, vcc_lo
	v_cndmask_b32_e64 v12, 0, -1, s0
	v_cmp_le_u32_e64 s0, s26, v5
	v_cmp_le_u32_e32 vcc_lo, s27, v3
	s_delay_alu instid0(VALU_DEP_2) | instskip(SKIP_3) | instid1(VALU_DEP_3)
	v_cndmask_b32_e64 v13, 0, -1, s0
	v_cmp_le_u32_e64 s0, s27, v11
	v_cndmask_b32_e64 v15, 0, -1, vcc_lo
	v_cmp_eq_u32_e32 vcc_lo, s27, v11
	v_cndmask_b32_e64 v14, 0, -1, s0
	v_cmp_eq_u32_e64 s0, s27, v3
	s_delay_alu instid0(VALU_DEP_2) | instskip(SKIP_1) | instid1(VALU_DEP_1)
	v_cndmask_b32_e32 v13, v14, v13, vcc_lo
	v_sub_co_u32 v14, vcc_lo, v5, s26
	v_subrev_co_ci_u32_e64 v2, null, 0, v2, vcc_lo
	s_delay_alu instid0(VALU_DEP_3) | instskip(NEXT) | instid1(VALU_DEP_3)
	v_cmp_ne_u32_e32 vcc_lo, 0, v13
	v_dual_cndmask_b32 v5, v5, v14, vcc_lo :: v_dual_cndmask_b32 v12, v15, v12, s0
	s_delay_alu instid0(VALU_DEP_3) | instskip(SKIP_1) | instid1(VALU_DEP_2)
	v_cndmask_b32_e32 v2, v11, v2, vcc_lo
	s_mov_b32 s0, exec_lo
	v_cmp_ne_u32_e32 vcc_lo, 0, v12
	s_delay_alu instid0(VALU_DEP_2) | instskip(NEXT) | instid1(VALU_DEP_1)
	v_dual_cndmask_b32 v3, v3, v2 :: v_dual_cndmask_b32 v2, v4, v5
	v_lshl_add_u64 v[4:5], v[2:3], 3, s[20:21]
	global_load_b64 v[4:5], v[4:5], off
	s_wait_loadcnt 0x0
	s_wait_xcnt 0x0
	v_cmpx_ne_u64_e64 v[4:5], v[0:1]
	s_cbranch_execz .LBB7_107
; %bb.102:                              ;   in Loop: Header=BB7_98 Depth=2
	s_mov_b32 s18, 0
                                        ; implicit-def: $sgpr19
                                        ; implicit-def: $sgpr21
                                        ; implicit-def: $sgpr20
	s_branch .LBB7_104
.LBB7_103:                              ;   in Loop: Header=BB7_104 Depth=3
	s_wait_xcnt 0x0
	s_or_b32 exec_lo, exec_lo, s22
	s_xor_b32 s22, s20, -1
	s_and_b32 s23, exec_lo, s21
	s_delay_alu instid0(SALU_CYCLE_1) | instskip(SKIP_2) | instid1(SALU_CYCLE_1)
	s_or_b32 s18, s23, s18
	s_and_not1_b32 s19, s19, exec_lo
	s_and_b32 s22, s22, exec_lo
	s_or_b32 s19, s19, s22
	s_and_not1_b32 exec_lo, exec_lo, s18
	s_cbranch_execz .LBB7_106
.LBB7_104:                              ;   Parent Loop BB7_15 Depth=1
                                        ;     Parent Loop BB7_98 Depth=2
                                        ; =>    This Inner Loop Header: Depth=3
	v_cmp_ne_u64_e32 vcc_lo, -1, v[4:5]
	s_or_b32 s20, s20, exec_lo
	s_or_b32 s21, s21, exec_lo
                                        ; implicit-def: $vgpr4_vgpr5
	s_and_saveexec_b32 s22, vcc_lo
	s_cbranch_execz .LBB7_103
; %bb.105:                              ;   in Loop: Header=BB7_104 Depth=3
	v_add_nc_u64_e32 v[2:3], 1, v[2:3]
	v_readlane_b32 s24, v58, 2
	v_readlane_b32 s25, v58, 3
	s_and_not1_b32 s21, s21, exec_lo
	s_and_not1_b32 s20, s20, exec_lo
	v_cmp_ne_u64_e32 vcc_lo, s[24:25], v[2:3]
	v_readlane_b32 s24, v59, 1
	v_readlane_b32 s25, v59, 2
	;; [unrolled: 1-line block ×4, first 2 shown]
	v_dual_cndmask_b32 v3, 0, v3 :: v_dual_cndmask_b32 v2, 0, v2
	s_delay_alu instid0(VALU_DEP_1) | instskip(SKIP_4) | instid1(SALU_CYCLE_1)
	v_lshl_add_u64 v[4:5], v[2:3], 3, s[24:25]
	global_load_b64 v[4:5], v[4:5], off
	s_wait_loadcnt 0x0
	v_cmp_eq_u64_e32 vcc_lo, v[4:5], v[0:1]
	s_and_b32 s23, vcc_lo, exec_lo
	s_or_b32 s21, s21, s23
	s_branch .LBB7_103
.LBB7_106:                              ;   in Loop: Header=BB7_98 Depth=2
	s_or_b32 exec_lo, exec_lo, s18
	s_delay_alu instid0(SALU_CYCLE_1)
	s_or_not1_b32 s18, s19, exec_lo
.LBB7_107:                              ;   in Loop: Header=BB7_98 Depth=2
	s_or_b32 exec_lo, exec_lo, s0
	v_mov_b32_e32 v4, -1
	s_and_saveexec_b32 s0, s18
	s_cbranch_execz .LBB7_109
; %bb.108:                              ;   in Loop: Header=BB7_98 Depth=2
	v_readlane_b32 s20, v59, 1
	v_readlane_b32 s22, v59, 3
	v_readlane_b32 s23, v59, 4
	v_readlane_b32 s21, v59, 2
	s_delay_alu instid0(VALU_DEP_2)
	v_lshl_add_u64 v[0:1], v[2:3], 2, s[22:23]
	global_load_b32 v4, v[0:1], off
.LBB7_109:                              ;   in Loop: Header=BB7_98 Depth=2
	s_wait_xcnt 0x0
	s_or_b32 exec_lo, exec_lo, s0
	s_wait_loadcnt 0x0
	v_cmp_ne_u32_e32 vcc_lo, v4, v44
	s_mov_b32 s18, exec_lo
	s_xor_b32 s0, exec_lo, -1
	s_or_not1_b32 s19, vcc_lo, exec_lo
.LBB7_110:                              ;   in Loop: Header=BB7_98 Depth=2
	s_or_b32 exec_lo, exec_lo, s17
	s_and_saveexec_b32 s17, s19
	s_cbranch_execz .LBB7_95
; %bb.111:                              ;   in Loop: Header=BB7_98 Depth=2
	v_cmp_ne_u32_e64 s21, -1, v4
	s_mov_b32 s19, s0
	s_mov_b32 s16, s18
	s_mov_b32 s20, exec_lo
	v_cmpx_eq_u32_e32 -1, v4
; %bb.112:                              ;   in Loop: Header=BB7_98 Depth=2
	v_add_nc_u32_e32 v0, 1, v7
	v_cmp_lt_i32_e32 vcc_lo, v7, v45
	s_and_not1_b32 s21, s21, exec_lo
	s_or_b32 s16, s18, exec_lo
	s_and_not1_b32 s19, s0, exec_lo
	v_mov_b32_e32 v7, v0
	s_and_b32 s22, vcc_lo, exec_lo
	s_delay_alu instid0(SALU_CYCLE_1)
	s_or_b32 s21, s21, s22
; %bb.113:                              ;   in Loop: Header=BB7_98 Depth=2
	s_or_b32 exec_lo, exec_lo, s20
	s_mov_b32 s22, -1
	s_and_saveexec_b32 s20, s21
	s_cbranch_execz .LBB7_94
; %bb.114:                              ;   in Loop: Header=BB7_98 Depth=2
	s_clause 0x1
	scratch_load_b32 v0, v9, off offset:3088 scale_offset
	scratch_load_b32 v1, v10, off offset:3088 scale_offset
	s_mov_b32 s21, -1
	s_mov_b32 s23, exec_lo
	s_wait_loadcnt 0x0
	v_max_i32_e32 v0, v0, v1
	s_delay_alu instid0(VALU_DEP_1)
	v_add_nc_u32_e32 v1, 1, v0
	scratch_store_b32 v8, v1, off offset:3088 scale_offset
	s_wait_xcnt 0x0
	v_cmpx_gt_i32_e32 0x3b9aca00, v0
	s_cbranch_execz .LBB7_93
; %bb.115:                              ;   in Loop: Header=BB7_98 Depth=2
	scratch_store_b32 v8, v4, off offset:2064 scale_offset
	s_wait_xcnt 0x0
	v_add_nc_u32_e32 v8, 1, v8
	s_xor_b32 s22, exec_lo, -1
	s_delay_alu instid0(VALU_DEP_1)
	v_cmp_ge_i32_e32 vcc_lo, v8, v6
	s_or_not1_b32 s21, vcc_lo, exec_lo
	s_branch .LBB7_93
.LBB7_116:                              ;   in Loop: Header=BB7_15 Depth=1
	s_or_b32 exec_lo, exec_lo, s8
	v_mov_b32_e32 v0, 0
	s_mov_b32 s10, 0
	s_mov_b32 s0, 0
	s_and_saveexec_b32 s8, s7
	s_delay_alu instid0(SALU_CYCLE_1)
	s_xor_b32 s7, exec_lo, s8
; %bb.117:                              ;   in Loop: Header=BB7_15 Depth=1
	v_mov_b32_e32 v0, v7
	s_mov_b32 s0, exec_lo
	s_and_b32 s10, s6, exec_lo
; %bb.118:                              ;   in Loop: Header=BB7_15 Depth=1
	s_or_b32 exec_lo, exec_lo, s7
	s_delay_alu instid0(SALU_CYCLE_1)
	s_and_b32 s9, s4, exec_lo
	v_readlane_b32 s4, v57, 5
	s_and_b32 s7, s5, exec_lo
	s_and_b32 s0, s0, exec_lo
	s_or_not1_b32 s10, s10, exec_lo
	s_and_not1_b32 s8, s4, exec_lo
	v_readlane_b32 s4, v57, 4
	s_and_not1_b32 s6, s4, exec_lo
	v_readlane_b32 s4, v57, 3
	;; [unrolled: 2-line block ×3, first 2 shown]
	s_and_not1_b32 s4, s4, exec_lo
.LBB7_119:                              ;   in Loop: Header=BB7_15 Depth=1
	s_or_b32 exec_lo, exec_lo, s3
	v_mov_b32_e32 v47, -1
	s_and_saveexec_b32 s3, s10
	s_cbranch_execz .LBB7_121
; %bb.120:                              ;   in Loop: Header=BB7_15 Depth=1
	scratch_load_b32 v43, v6, off offset:3084 scale_offset
	v_mov_b32_e32 v47, v0
	s_or_b32 s0, s0, exec_lo
.LBB7_121:                              ;   in Loop: Header=BB7_15 Depth=1
	s_wait_xcnt 0x0
	s_or_b32 exec_lo, exec_lo, s3
	s_delay_alu instid0(SALU_CYCLE_1)
	s_and_b32 s3, s9, exec_lo
	s_and_b32 s7, s7, exec_lo
	v_writelane_b32 v57, s3, 13
	s_and_b32 s8, s8, exec_lo
	s_and_b32 s6, s6, exec_lo
	;; [unrolled: 1-line block ×4, first 2 shown]
	v_readlane_b32 s3, v57, 5
	v_writelane_b32 v57, s7, 8
	s_and_not1_b32 s1, s1, exec_lo
	s_and_b32 s0, s0, exec_lo
	s_delay_alu instid0(SALU_CYCLE_1) | instskip(SKIP_1) | instid1(SALU_CYCLE_1)
	s_or_b32 s1, s1, s0
	s_and_not1_b32 s3, s3, exec_lo
	s_or_b32 s3, s3, s8
	s_delay_alu instid0(SALU_CYCLE_1) | instskip(NEXT) | instid1(VALU_DEP_1)
	v_writelane_b32 v57, s3, 12
	v_readlane_b32 s3, v57, 4
	v_readlane_b32 s7, v57, 3
	s_and_not1_b32 s3, s3, exec_lo
	s_and_not1_b32 s7, s7, exec_lo
	s_or_b32 s3, s3, s6
	s_delay_alu instid0(SALU_CYCLE_1) | instskip(SKIP_1) | instid1(SALU_CYCLE_1)
	v_writelane_b32 v57, s3, 11
	s_or_b32 s3, s7, s5
	v_writelane_b32 v57, s3, 10
	s_delay_alu instid0(VALU_DEP_1) | instskip(SKIP_1) | instid1(SALU_CYCLE_1)
	v_readlane_b32 s3, v57, 2
	s_and_not1_b32 s3, s3, exec_lo
	s_or_b32 s3, s3, s4
	s_delay_alu instid0(SALU_CYCLE_1)
	v_writelane_b32 v57, s3, 9
.LBB7_122:                              ;   in Loop: Header=BB7_15 Depth=1
	s_or_b32 exec_lo, exec_lo, s2
	s_mov_b32 s2, -1
	s_mov_b32 s0, 0
	s_mov_b32 s3, 0
	;; [unrolled: 1-line block ×17, first 2 shown]
	s_mov_b32 s19, exec_lo
	s_delay_alu instid0(SALU_CYCLE_1)
	s_and_b32 s1, s19, s1
	v_writelane_b32 v57, s19, 14
	s_mov_b32 exec_lo, s1
	s_cbranch_execz .LBB7_8
; %bb.123:                              ;   in Loop: Header=BB7_15 Depth=1
	s_mov_b32 s0, exec_lo
	v_cmpx_lt_i32_e32 0, v56
	s_cbranch_execz .LBB7_131
; %bb.124:                              ;   in Loop: Header=BB7_15 Depth=1
	s_mov_b32 s1, exec_lo
	v_cmpx_ne_u32_e32 1, v56
	s_xor_b32 s1, exec_lo, s1
	s_cbranch_execz .LBB7_128
; %bb.125:                              ;   in Loop: Header=BB7_15 Depth=1
	v_and_b32_e32 v0, 0x7ffffffe, v56
	v_add_nc_u32_e32 v94, -1, v56
	s_mov_b32 s2, 0
.LBB7_126:                              ;   Parent Loop BB7_15 Depth=1
                                        ; =>  This Inner Loop Header: Depth=2
	s_delay_alu instid0(VALU_DEP_1) | instskip(SKIP_4) | instid1(VALU_DEP_1)
	v_lshl_add_u64 v[2:3], v[94:95], 2, v[92:93]
	v_add_nc_u32_e32 v94, -2, v94
	global_load_b64 v[4:5], v[2:3], off offset:-4
	s_wait_loadcnt 0x0
	v_dual_add_nc_u32 v0, -2, v0 :: v_dual_bitop2_b32 v5, -1, v5 bitop3:0x14
	v_cmp_eq_u32_e32 vcc_lo, 0, v0
	v_xor_b32_e32 v4, -1, v4
	s_or_b32 s2, vcc_lo, s2
	global_store_b64 v[2:3], v[4:5], off offset:-4
	s_wait_xcnt 0x0
	s_and_not1_b32 exec_lo, exec_lo, s2
	s_cbranch_execnz .LBB7_126
; %bb.127:                              ;   in Loop: Header=BB7_15 Depth=1
	s_or_b32 exec_lo, exec_lo, s2
.LBB7_128:                              ;   in Loop: Header=BB7_15 Depth=1
	s_and_not1_saveexec_b32 s1, s1
	s_cbranch_execz .LBB7_131
; %bb.129:                              ;   in Loop: Header=BB7_15 Depth=1
	v_mov_b64_e32 v[0:1], v[92:93]
	s_mov_b32 s1, 2
.LBB7_130:                              ;   Parent Loop BB7_15 Depth=1
                                        ; =>  This Inner Loop Header: Depth=2
	global_load_b32 v2, v[0:1], off
	s_add_co_i32 s1, s1, -1
	s_delay_alu instid0(SALU_CYCLE_1)
	s_cmp_lt_u32 s1, 2
	s_wait_loadcnt 0x0
	v_not_b32_e32 v2, v2
	global_store_b32 v[0:1], v2, off
	s_wait_xcnt 0x0
	v_add_nc_u64_e32 v[0:1], 0x3fffffffc, v[0:1]
	s_cbranch_scc0 .LBB7_130
.LBB7_131:                              ;   in Loop: Header=BB7_15 Depth=1
	s_or_b32 exec_lo, exec_lo, s0
	scratch_load_b32 v0, off, off offset:4160
	s_mov_b32 s1, -1
	s_mov_b32 s0, 0
	s_mov_b32 s2, -1
	s_mov_b32 s3, 0
	s_mov_b32 s4, 0
	;; [unrolled: 1-line block ×15, first 2 shown]
	s_wait_loadcnt 0x0
	v_cmp_lt_i32_e32 vcc_lo, -1, v0
	s_wait_xcnt 0x0
	s_mov_b32 s17, exec_lo
	s_delay_alu instid0(SALU_CYCLE_1) | instskip(SKIP_1) | instid1(SALU_CYCLE_1)
	v_writelane_b32 v57, s17, 15
	s_and_b32 s17, s17, vcc_lo
	s_mov_b32 exec_lo, s17
	s_cbranch_execz .LBB7_7
; %bb.132:                              ;   in Loop: Header=BB7_15 Depth=1
	scratch_load_b64 v[6:7], off, off offset:41048 ; 8-byte Folded Reload
	v_readlane_b32 s0, v58, 26
	v_dual_mov_b32 v0, v92 :: v_dual_mov_b32 v1, v93
	v_dual_mov_b32 v2, v92 :: v_dual_mov_b32 v3, v93
	;; [unrolled: 1-line block ×3, first 2 shown]
	v_readlane_b32 s1, v58, 27
	s_mov_b64 s[8:9], s[50:51]
	v_writelane_b32 v57, s43, 6
	scratch_store_b32 off, v95, off offset:4160
	s_wait_loadcnt 0x0
	v_dual_mov_b32 v5, v6 :: v_dual_mov_b32 v6, v7
	v_mov_b32_e32 v7, v108
	s_swap_pc_i64 s[30:31], s[0:1]
	v_mov_b32_e32 v94, v56
	s_mov_b32 s0, 0
                                        ; implicit-def: $sgpr13
                                        ; implicit-def: $sgpr2
                                        ; implicit-def: $sgpr1
	s_branch .LBB7_134
.LBB7_133:                              ;   in Loop: Header=BB7_134 Depth=2
	s_wait_xcnt 0x0
	s_or_b32 exec_lo, exec_lo, s3
	s_delay_alu instid0(SALU_CYCLE_1) | instskip(NEXT) | instid1(SALU_CYCLE_1)
	s_and_b32 s3, exec_lo, s2
	s_or_b32 s0, s3, s0
	s_and_not1_b32 s3, s13, exec_lo
	s_and_b32 s4, s1, exec_lo
	s_delay_alu instid0(SALU_CYCLE_1)
	s_or_b32 s13, s3, s4
	s_and_not1_b32 exec_lo, exec_lo, s0
	s_cbranch_execz .LBB7_136
.LBB7_134:                              ;   Parent Loop BB7_15 Depth=1
                                        ; =>  This Inner Loop Header: Depth=2
	s_or_b32 s1, s1, exec_lo
	s_or_b32 s2, s2, exec_lo
	s_mov_b32 s3, exec_lo
	s_wait_xcnt 0x0
	v_cmpx_lt_i32_e32 0, v94
	s_cbranch_execz .LBB7_133
; %bb.135:                              ;   in Loop: Header=BB7_134 Depth=2
	v_add_nc_u32_e32 v94, -1, v94
	s_and_not1_b32 s2, s2, exec_lo
	s_and_not1_b32 s1, s1, exec_lo
	s_delay_alu instid0(VALU_DEP_1) | instskip(NEXT) | instid1(VALU_DEP_1)
	v_lshlrev_b64_e32 v[2:3], 2, v[94:95]
	v_add_nc_u64_e32 v[4:5], v[92:93], v[2:3]
	v_add_nc_u64_e32 v[2:3], v[0:1], v[2:3]
	global_load_b32 v4, v[4:5], off
	flat_load_b32 v2, v[2:3]
	s_wait_loadcnt_dscnt 0x0
	v_cmp_ne_u32_e32 vcc_lo, v4, v2
	s_and_b32 s4, vcc_lo, exec_lo
	s_delay_alu instid0(SALU_CYCLE_1)
	s_or_b32 s2, s2, s4
	s_branch .LBB7_133
.LBB7_136:                              ;   in Loop: Header=BB7_15 Depth=1
	s_or_b32 exec_lo, exec_lo, s0
	s_mov_b32 s0, 0
	s_mov_b32 s1, -1
	s_mov_b32 s2, 0
	s_mov_b32 s3, 0
	s_mov_b32 s4, 0
	s_mov_b32 s5, 0
	s_mov_b32 s6, 0
	s_mov_b32 s7, 0
	s_mov_b32 s8, 0
	s_mov_b32 s9, 0
	s_mov_b32 s10, 0
	s_mov_b32 s11, 0
	s_mov_b32 s12, 0
	s_mov_b32 s17, 0
	s_mov_b32 s19, 0
	s_mov_b32 s20, 0
	s_mov_b32 s18, -1
	s_and_saveexec_b32 s14, s13
	v_readlane_b32 s50, v58, 6
	v_readlane_b32 s51, v58, 7
	;; [unrolled: 1-line block ×4, first 2 shown]
	s_xor_b32 s46, exec_lo, s14
	s_cbranch_execz .LBB7_6
; %bb.137:                              ;   in Loop: Header=BB7_15 Depth=1
	scratch_load_b32 v2, off, off offset:2052
	s_mov_b32 s1, exec_lo
	s_wait_loadcnt 0x0
	s_wait_xcnt 0x0
	v_cmpx_lt_i32_e32 0, v2
	s_xor_b32 s1, exec_lo, s1
	s_cbranch_execz .LBB7_141
; %bb.138:                              ;   in Loop: Header=BB7_15 Depth=1
	s_mov_b32 s2, -1
	s_mov_b32 s4, exec_lo
	v_cmpx_eq_u32_e32 1, v2
	s_cbranch_execz .LBB7_140
; %bb.139:                              ;   in Loop: Header=BB7_15 Depth=1
	scratch_load_b64 v[0:1], off, off offset:2056
	s_wait_loadcnt 0x0
	flat_load_b32 v0, v[0:1]
	s_wait_loadcnt_dscnt 0x0
	v_cmp_eq_u32_e32 vcc_lo, 0, v0
	v_cmp_ne_u32_e64 s0, 0, v0
	s_and_b32 s3, vcc_lo, exec_lo
	s_or_not1_b32 s2, s0, exec_lo
.LBB7_140:                              ;   in Loop: Header=BB7_15 Depth=1
	s_wait_xcnt 0x0
	s_or_b32 exec_lo, exec_lo, s4
	s_delay_alu instid0(SALU_CYCLE_1)
	s_and_b32 s0, s3, exec_lo
	s_and_b32 s3, s2, exec_lo
.LBB7_141:                              ;   in Loop: Header=BB7_15 Depth=1
	s_and_not1_saveexec_b32 s1, s1
; %bb.142:                              ;   in Loop: Header=BB7_15 Depth=1
	v_cmp_ne_u32_e32 vcc_lo, 0, v2
	s_and_not1_b32 s2, s3, exec_lo
	s_or_b32 s0, s0, exec_lo
	s_and_b32 s3, vcc_lo, exec_lo
	s_delay_alu instid0(SALU_CYCLE_1)
	s_or_b32 s3, s2, s3
; %bb.143:                              ;   in Loop: Header=BB7_15 Depth=1
	s_or_b32 exec_lo, exec_lo, s1
	s_mov_b32 s47, 0
	s_mov_b32 s61, -1
	s_mov_b32 s2, 0
	s_mov_b32 s48, 0
	;; [unrolled: 1-line block ×4, first 2 shown]
	s_and_saveexec_b32 s1, s3
	s_cbranch_execz .LBB7_158
; %bb.144:                              ;   in Loop: Header=BB7_15 Depth=1
	v_mov_b32_e32 v3, -1
	s_mov_b32 s8, -1
	s_mov_b32 s3, -1
	s_mov_b32 s4, exec_lo
	v_cmpx_lt_i32_e32 0, v2
	s_cbranch_execz .LBB7_148
; %bb.145:                              ;   in Loop: Header=BB7_15 Depth=1
	scratch_load_b32 v1, off, off offset:4160
	s_mov_b32 s2, exec_lo
	s_wait_loadcnt 0x0
	v_dual_mov_b32 v3, -1 :: v_dual_add_nc_u32 v0, v1, v2
	s_wait_xcnt 0x0
	s_delay_alu instid0(VALU_DEP_1)
	v_cmpx_gt_i32_e32 0x2001, v0
	s_cbranch_execz .LBB7_147
; %bb.146:                              ;   in Loop: Header=BB7_15 Depth=1
	v_lshlrev_b32_e32 v1, 2, v1
	s_mov_b32 s6, exec_lo
	scratch_store_b32 off, v0, off offset:4160
	v_add3_u32 v3, 0x1040, v1, 4
.LBB7_147:                              ;   in Loop: Header=BB7_15 Depth=1
	s_wait_xcnt 0x0
	s_or_b32 exec_lo, exec_lo, s2
	s_delay_alu instid0(SALU_CYCLE_1)
	s_mov_b32 s2, exec_lo
	s_xor_b32 s3, exec_lo, -1
	s_or_not1_b32 s8, s6, exec_lo
.LBB7_148:                              ;   in Loop: Header=BB7_15 Depth=1
	s_or_b32 exec_lo, exec_lo, s4
	s_mov_b32 s6, 0
	s_and_saveexec_b32 s4, s8
	s_cbranch_execz .LBB7_157
; %bb.149:                              ;   in Loop: Header=BB7_15 Depth=1
	s_mov_b32 s6, -1
	s_mov_b32 s8, 0
	s_mov_b32 s5, exec_lo
	v_cmpx_ne_u32_e32 -1, v3
	s_cbranch_execz .LBB7_156
; %bb.150:                              ;   in Loop: Header=BB7_15 Depth=1
	s_mov_b32 s6, exec_lo
	v_cmpx_lt_i32_e32 0, v2
	s_cbranch_execz .LBB7_155
; %bb.151:                              ;   in Loop: Header=BB7_15 Depth=1
	scratch_load_b64 v[0:1], off, off offset:2056
	v_dual_mov_b32 v4, v2 :: v_dual_mov_b32 v5, v3
.LBB7_152:                              ;   Parent Loop BB7_15 Depth=1
                                        ; =>  This Inner Loop Header: Depth=2
	s_wait_loadcnt 0x0
	flat_load_b32 v6, v[0:1]
	v_add_nc_u32_e32 v4, -1, v4
	s_wait_xcnt 0x0
	v_add_nc_u64_e32 v[0:1], 4, v[0:1]
	s_wait_loadcnt_dscnt 0x0
	scratch_store_b32 v5, v6, off
	s_wait_xcnt 0x0
	v_add_nc_u32_e32 v5, 4, v5
	v_cmp_eq_u32_e32 vcc_lo, 0, v4
	s_or_b32 s7, vcc_lo, s7
	s_delay_alu instid0(SALU_CYCLE_1)
	s_and_not1_b32 exec_lo, exec_lo, s7
	s_cbranch_execnz .LBB7_152
; %bb.153:                              ;   in Loop: Header=BB7_15 Depth=1
	s_or_b32 exec_lo, exec_lo, s7
	v_mov_b32_e32 v0, v2
	v_readlane_b32 s8, v59, 29
	s_mov_b32 s7, 0
.LBB7_154:                              ;   Parent Loop BB7_15 Depth=1
                                        ; =>  This Inner Loop Header: Depth=2
	scratch_load_b32 v1, v3, off
	s_wait_xcnt 0x0
	v_dual_add_nc_u32 v0, -1, v0 :: v_dual_add_nc_u32 v3, 4, v3
	s_delay_alu instid0(VALU_DEP_1)
	v_cmp_eq_u32_e32 vcc_lo, 0, v0
	s_wait_loadcnt 0x0
	scratch_store_b32 off, v1, s8
	s_wait_xcnt 0x0
	s_add_co_i32 s8, s8, 4
	s_or_b32 s7, vcc_lo, s7
	s_delay_alu instid0(SALU_CYCLE_1)
	s_and_not1_b32 exec_lo, exec_lo, s7
	s_cbranch_execnz .LBB7_154
.LBB7_155:                              ;   in Loop: Header=BB7_15 Depth=1
	s_or_b32 exec_lo, exec_lo, s6
	scratch_load_b32 v0, off, off offset:4160
	s_mov_b32 s7, exec_lo
	s_xor_b32 s6, exec_lo, -1
	s_wait_loadcnt 0x0
	v_cmp_ge_i32_e32 vcc_lo, v0, v2
	s_and_b32 s8, vcc_lo, exec_lo
.LBB7_156:                              ;   in Loop: Header=BB7_15 Depth=1
	s_wait_xcnt 0x0
	s_or_b32 exec_lo, exec_lo, s5
	s_delay_alu instid0(SALU_CYCLE_1)
	s_and_not1_b32 s3, s3, exec_lo
	s_and_b32 s7, s7, exec_lo
	s_and_b32 s6, s6, exec_lo
	s_and_not1_b32 s2, s2, exec_lo
	s_and_b32 s5, s8, exec_lo
.LBB7_157:                              ;   in Loop: Header=BB7_15 Depth=1
	s_or_b32 exec_lo, exec_lo, s4
	s_delay_alu instid0(SALU_CYCLE_1)
	s_or_not1_b32 s61, s3, exec_lo
	s_and_b32 s49, s7, exec_lo
	s_and_b32 s60, s6, exec_lo
	;; [unrolled: 1-line block ×4, first 2 shown]
	s_and_not1_b32 s0, s0, exec_lo
.LBB7_158:                              ;   in Loop: Header=BB7_15 Depth=1
	s_or_b32 exec_lo, exec_lo, s1
	s_and_saveexec_b32 s1, s0
	s_cbranch_execz .LBB7_160
; %bb.159:                              ;   in Loop: Header=BB7_15 Depth=1
	scratch_load_b32 v0, off, off offset:4160
	s_and_not1_b32 s0, s2, exec_lo
	s_mov_b32 s47, exec_lo
	s_and_not1_b32 s61, s61, exec_lo
	s_and_not1_b32 s49, s49, exec_lo
	;; [unrolled: 1-line block ×4, first 2 shown]
	scratch_store_b32 off, v95, off offset:4164
	s_wait_loadcnt 0x0
	v_cmp_ge_i32_e32 vcc_lo, v0, v2
	s_and_b32 s2, vcc_lo, exec_lo
	s_delay_alu instid0(SALU_CYCLE_1)
	s_or_b32 s2, s0, s2
.LBB7_160:                              ;   in Loop: Header=BB7_15 Depth=1
	s_wait_xcnt 0x0
	s_or_b32 exec_lo, exec_lo, s1
	s_mov_b32 s1, -1
	s_mov_b32 s0, 0
	s_mov_b32 s4, 0
	;; [unrolled: 1-line block ×11, first 2 shown]
	s_and_saveexec_b32 s62, s2
	s_cbranch_execz .LBB7_5
; %bb.161:                              ;   in Loop: Header=BB7_15 Depth=1
	s_mov_b32 s81, 0
	s_mov_b32 s1, exec_lo
	s_clause 0x1
	scratch_store_b32 off, v2, off offset:4160
	scratch_store_b32 off, v40, off offset:38992
	s_wait_xcnt 0x0
	v_cmpx_lt_i32_e32 0, v2
	s_xor_b32 s1, exec_lo, s1
	s_cbranch_execz .LBB7_167
; %bb.162:                              ;   in Loop: Header=BB7_15 Depth=1
	s_mov_b32 s0, -1
	s_mov_b32 s3, 0
	s_mov_b32 s2, exec_lo
	v_cmpx_eq_u32_e32 1, v2
	s_cbranch_execz .LBB7_166
; %bb.163:                              ;   in Loop: Header=BB7_15 Depth=1
	scratch_load_b32 v0, off, off offset:4164
	s_wait_loadcnt 0x0
	v_cmp_eq_u32_e64 s0, 0, v0
	v_cmp_ne_u32_e32 vcc_lo, 0, v0
	s_wait_xcnt 0x0
	s_and_saveexec_b32 s4, s0
	s_delay_alu instid0(SALU_CYCLE_1)
	s_xor_b32 s0, exec_lo, s4
	s_cbranch_execz .LBB7_165
; %bb.164:                              ;   in Loop: Header=BB7_15 Depth=1
	v_mov_b64_e32 v[0:1], 0x100000003
	s_mov_b32 s3, exec_lo
	scratch_store_b32 off, v46, off offset:38992
	scratch_store_b64 v40, v[0:1], off offset:39000 scale_offset
.LBB7_165:                              ;   in Loop: Header=BB7_15 Depth=1
	s_wait_xcnt 0x0
	s_or_b32 exec_lo, exec_lo, s0
	s_delay_alu instid0(SALU_CYCLE_1)
	s_and_b32 s3, s3, exec_lo
	s_or_not1_b32 s0, vcc_lo, exec_lo
.LBB7_166:                              ;   in Loop: Header=BB7_15 Depth=1
	s_or_b32 exec_lo, exec_lo, s2
	s_delay_alu instid0(SALU_CYCLE_1)
	s_and_b32 s81, s3, exec_lo
	s_and_b32 s0, s0, exec_lo
.LBB7_167:                              ;   in Loop: Header=BB7_15 Depth=1
	s_and_not1_saveexec_b32 s1, s1
; %bb.168:                              ;   in Loop: Header=BB7_15 Depth=1
	v_cmp_ne_u32_e32 vcc_lo, 0, v2
	s_and_not1_b32 s0, s0, exec_lo
	s_mov_b32 s14, exec_lo
	s_and_b32 s2, vcc_lo, exec_lo
	s_delay_alu instid0(SALU_CYCLE_1)
	s_or_b32 s0, s0, s2
; %bb.169:                              ;   in Loop: Header=BB7_15 Depth=1
	s_or_b32 exec_lo, exec_lo, s1
	v_mov_b32_e32 v6, v46
	s_mov_b32 s1, 0
	s_mov_b32 s3, s48
	;; [unrolled: 1-line block ×7, first 2 shown]
	s_and_saveexec_b32 s15, s0
	s_cbranch_execz .LBB7_191
; %bb.170:                              ;   in Loop: Header=BB7_15 Depth=1
	v_mov_b32_e32 v106, -1
	s_mov_b32 s1, -1
	s_mov_b32 s80, s48
	s_mov_b32 s11, s60
	;; [unrolled: 1-line block ×5, first 2 shown]
	s_mov_b32 s0, exec_lo
	scratch_store_b32 off, v95, off offset:4132
	s_wait_xcnt 0x0
	v_cmpx_lt_i32_e32 0, v2
	s_cbranch_execz .LBB7_174
; %bb.171:                              ;   in Loop: Header=BB7_15 Depth=1
	v_mov_b32_e32 v106, -1
	s_mov_b32 s1, 0
	s_mov_b32 s2, exec_lo
	v_cmpx_gt_u32_e32 0x1001, v2
	s_cbranch_execz .LBB7_173
; %bb.172:                              ;   in Loop: Header=BB7_15 Depth=1
	v_lshl_add_u32 v0, v2, 3, 0x1040
	v_lshlrev_b32_e32 v1, 2, v2
	s_mov_b32 s1, exec_lo
	s_delay_alu instid0(VALU_DEP_1) | instskip(NEXT) | instid1(VALU_DEP_1)
	v_dual_sub_nc_u32 v0, v0, v1 :: v_dual_lshlrev_b32 v1, 1, v2
	v_add_nc_u32_e32 v106, 4, v0
	scratch_store_b32 off, v1, off offset:4160
.LBB7_173:                              ;   in Loop: Header=BB7_15 Depth=1
	s_wait_xcnt 0x0
	s_or_b32 exec_lo, exec_lo, s2
	s_delay_alu instid0(SALU_CYCLE_1)
	s_mov_b32 s13, exec_lo
	s_and_not1_b32 s21, s61, exec_lo
	s_and_not1_b32 s18, s47, exec_lo
	;; [unrolled: 1-line block ×5, first 2 shown]
	s_or_not1_b32 s1, s1, exec_lo
.LBB7_174:                              ;   in Loop: Header=BB7_15 Depth=1
	s_or_b32 exec_lo, exec_lo, s0
	s_mov_b32 s0, s81
                                        ; implicit-def: $vgpr6
	s_and_saveexec_b32 s22, s1
	s_cbranch_execz .LBB7_190
; %bb.175:                              ;   in Loop: Header=BB7_15 Depth=1
	v_add_nc_u64_e32 v[0:1], src_flat_scratch_base_lo, v[106:107]
	v_cmp_ne_u32_e32 vcc_lo, -1, v106
	s_mov_b32 s0, exec_lo
	s_delay_alu instid0(VALU_DEP_2)
	v_dual_cndmask_b32 v1, 0, v1 :: v_dual_cndmask_b32 v0, 0, v0
	scratch_store_b64 off, v[0:1], off offset:4136
	s_wait_xcnt 0x0
	v_cmpx_lt_i32_e32 0, v2
	s_cbranch_execz .LBB7_179
; %bb.176:                              ;   in Loop: Header=BB7_15 Depth=1
	v_mov_b32_e32 v0, v2
	v_readlane_b32 s2, v59, 29
	s_mov_b32 s1, 0
.LBB7_177:                              ;   Parent Loop BB7_15 Depth=1
                                        ; =>  This Inner Loop Header: Depth=2
	scratch_load_b32 v1, off, s2
	s_wait_xcnt 0x0
	s_add_co_i32 s2, s2, 4
	v_add_nc_u32_e32 v0, -1, v0
	s_delay_alu instid0(VALU_DEP_1) | instskip(SKIP_3) | instid1(VALU_DEP_1)
	v_cmp_eq_u32_e32 vcc_lo, 0, v0
	s_or_b32 s1, vcc_lo, s1
	s_wait_loadcnt 0x0
	v_lshrrev_b32_e32 v3, 1, v1
	v_bitop3_b32 v3, v3, 0x55555555, v1 bitop3:0xc8
	s_delay_alu instid0(VALU_DEP_1) | instskip(NEXT) | instid1(VALU_DEP_1)
	v_lshl_add_u32 v3, v3, 1, v3
	v_xor_b32_e32 v1, v3, v1
	scratch_store_b32 v106, v1, off
	s_wait_xcnt 0x0
	v_add_nc_u32_e32 v106, 4, v106
	s_and_not1_b32 exec_lo, exec_lo, s1
	s_cbranch_execnz .LBB7_177
; %bb.178:                              ;   in Loop: Header=BB7_15 Depth=1
	s_or_b32 exec_lo, exec_lo, s1
	scratch_store_b32 off, v2, off offset:4132
.LBB7_179:                              ;   in Loop: Header=BB7_15 Depth=1
	v_writelane_b32 v57, s22, 16
	v_writelane_b32 v58, s47, 26
	;; [unrolled: 1-line block ×15, first 2 shown]
	s_wait_xcnt 0x0
	s_or_b32 exec_lo, exec_lo, s0
	s_clause 0x1
	scratch_load_b64 v[0:1], off, off offset:41064
	scratch_load_b64 v[6:7], off, off offset:41056
	v_dual_mov_b32 v3, v108 :: v_dual_lshlrev_b32 v2, 1, v40
	v_mov_b32_e32 v4, v109
	s_get_pc_i64 s[0:1]
	s_add_nc_u64 s[0:1], s[0:1], _ZN3sop12sopFactorRecEPNS_3SopEiP7VecsMemIjLi8192EEPN8subgUtil4SubgILi256EEE@rel64+4
	s_mov_b64 s[8:9], s[50:51]
	s_wait_loadcnt 0x0
	v_dual_mov_b32 v5, v6 :: v_dual_mov_b32 v6, v7
	s_swap_pc_i64 s[30:31], s[0:1]
	scratch_load_b32 v6, off, off offset:38992
	v_readlane_b32 s17, v57, 21
	v_readlane_b32 s19, v57, 19
	;; [unrolled: 1-line block ×5, first 2 shown]
	v_ashrrev_i32_e32 v2, 1, v0
	s_mov_b32 s8, 0
	s_mov_b32 s6, s81
	;; [unrolled: 1-line block ×9, first 2 shown]
	s_mov_b32 s9, exec_lo
	s_wait_xcnt 0x0
	v_cmpx_ge_i32_e64 v2, v40
	v_readlane_b32 s46, v57, 29
	v_readlane_b32 s62, v57, 24
	;; [unrolled: 1-line block ×5, first 2 shown]
	s_xor_b32 s9, exec_lo, s9
	s_cbranch_execz .LBB7_183
; %bb.180:                              ;   in Loop: Header=BB7_15 Depth=1
	s_wait_loadcnt 0x0
	scratch_load_b64 v[0:1], v6, off offset:38992 scale_offset
	s_mov_b32 s1, s81
	s_wait_loadcnt 0x0
	v_lshrrev_b32_e32 v2, 1, v0
	v_cmp_lt_i64_e32 vcc_lo, -1, v[0:1]
	s_delay_alu instid0(VALU_DEP_2) | instskip(SKIP_3) | instid1(SALU_CYCLE_1)
	v_cmp_ge_i32_e64 s0, v2, v1
	s_and_b32 s0, vcc_lo, s0
	s_wait_xcnt 0x0
	s_and_saveexec_b32 s2, s0
	s_xor_b32 s0, exec_lo, s2
	s_cbranch_execz .LBB7_182
; %bb.181:                              ;   in Loop: Header=BB7_15 Depth=1
	v_lshl_add_u32 v2, v6, 3, 0x9850
	v_xor_b32_e32 v0, 1, v0
	s_or_b32 s1, s81, exec_lo
	scratch_store_b64 v2, v[0:1], off
.LBB7_182:                              ;   in Loop: Header=BB7_15 Depth=1
	s_wait_xcnt 0x0
	s_or_b32 exec_lo, exec_lo, s0
	s_delay_alu instid0(SALU_CYCLE_1)
	s_and_not1_b32 s6, s81, exec_lo
	s_and_b32 s10, s1, exec_lo
	s_mov_b32 s4, exec_lo
	s_and_not1_b32 s7, s21, exec_lo
	s_and_not1_b32 s5, s18, exec_lo
	;; [unrolled: 1-line block ×6, first 2 shown]
	s_or_b32 s6, s6, s10
                                        ; implicit-def: $vgpr2
                                        ; implicit-def: $vgpr0
.LBB7_183:                              ;   in Loop: Header=BB7_15 Depth=1
	s_or_saveexec_b32 s9, s9
	v_readlane_b32 s50, v58, 6
	v_readlane_b32 s51, v58, 7
	;; [unrolled: 1-line block ×9, first 2 shown]
	s_mov_b32 s10, 0
	s_xor_b32 exec_lo, exec_lo, s9
	s_cbranch_execz .LBB7_189
; %bb.184:                              ;   in Loop: Header=BB7_15 Depth=1
	s_mov_b32 s12, -1
	s_mov_b32 s11, s6
	s_mov_b32 s8, exec_lo
	s_wait_loadcnt 0x0
	v_cmpx_eq_u32_e64 v6, v40
	s_cbranch_execz .LBB7_188
; %bb.185:                              ;   in Loop: Header=BB7_15 Depth=1
	v_ashrrev_i32_e32 v3, 31, v2
	s_mov_b32 s11, s6
	s_mov_b32 s10, exec_lo
	s_delay_alu instid0(VALU_DEP_1) | instskip(SKIP_4) | instid1(VALU_DEP_1)
	v_lshl_add_u64 v[2:3], v[2:3], 2, v[120:121]
	global_load_b32 v1, v[2:3], off
	s_wait_loadcnt 0x0
	v_lshlrev_b32_e32 v1, 1, v1
	s_wait_xcnt 0x0
	v_cmpx_lt_i32_e32 -1, v1
	s_xor_b32 s10, exec_lo, s10
	s_cbranch_execz .LBB7_187
; %bb.186:                              ;   in Loop: Header=BB7_15 Depth=1
	v_bitop3_b32 v1, v1, v0, 1 bitop3:0xf2
	s_or_b32 s11, s6, exec_lo
	s_delay_alu instid0(VALU_DEP_1) | instskip(NEXT) | instid1(VALU_DEP_1)
	v_lshlrev_b32_e32 v2, 1, v1
	v_bitop3_b32 v0, v2, v0, 1 bitop3:0xf2
	scratch_store_b32 off, v46, off offset:38992
	scratch_store_b64 v40, v[0:1], off offset:39000 scale_offset
.LBB7_187:                              ;   in Loop: Header=BB7_15 Depth=1
	s_wait_xcnt 0x0
	s_or_b32 exec_lo, exec_lo, s10
	s_delay_alu instid0(SALU_CYCLE_1)
	s_and_not1_b32 s13, s6, exec_lo
	s_and_b32 s11, s11, exec_lo
	s_mov_b32 s10, exec_lo
	s_xor_b32 s12, exec_lo, -1
	s_or_b32 s11, s13, s11
.LBB7_188:                              ;   in Loop: Header=BB7_15 Depth=1
	s_or_b32 exec_lo, exec_lo, s8
	s_delay_alu instid0(SALU_CYCLE_1)
	s_and_not1_b32 s6, s6, exec_lo
	s_and_b32 s11, s11, exec_lo
	s_and_not1_b32 s7, s7, exec_lo
	s_and_b32 s10, s10, exec_lo
	s_and_b32 s8, s12, exec_lo
	s_and_not1_b32 s4, s4, exec_lo
	s_and_not1_b32 s5, s5, exec_lo
	;; [unrolled: 1-line block ×5, first 2 shown]
	v_mov_b32_e32 v6, v46
	s_and_not1_b32 s1, s1, exec_lo
	s_or_b32 s6, s6, s11
.LBB7_189:                              ;   in Loop: Header=BB7_15 Depth=1
	s_or_b32 exec_lo, exec_lo, s9
	s_delay_alu instid0(SALU_CYCLE_1)
	s_and_not1_b32 s9, s21, exec_lo
	s_and_b32 s7, s7, exec_lo
	s_and_b32 s5, s5, exec_lo
	s_or_b32 s21, s9, s7
	s_and_b32 s7, s8, exec_lo
	s_and_not1_b32 s8, s18, exec_lo
	s_and_not1_b32 s9, s20, exec_lo
	s_and_b32 s3, s3, exec_lo
	s_or_b32 s13, s8, s5
	s_or_b32 s18, s9, s3
	s_and_not1_b32 s3, s19, exec_lo
	s_and_b32 s2, s2, exec_lo
	s_and_not1_b32 s5, s17, exec_lo
	s_and_b32 s0, s0, exec_lo
	s_or_b32 s17, s3, s2
	s_or_b32 s11, s5, s0
	s_and_not1_b32 s0, s80, exec_lo
	s_and_b32 s1, s1, exec_lo
	s_and_not1_b32 s2, s81, exec_lo
	s_and_b32 s3, s6, exec_lo
	s_and_b32 s10, s10, exec_lo
	;; [unrolled: 1-line block ×3, first 2 shown]
	s_or_b32 s80, s0, s1
	s_or_b32 s0, s2, s3
.LBB7_190:                              ;   in Loop: Header=BB7_15 Depth=1
	s_or_b32 exec_lo, exec_lo, s22
	s_delay_alu instid0(SALU_CYCLE_1)
	s_and_not1_b32 s1, s61, exec_lo
	s_and_b32 s2, s21, exec_lo
	s_and_b32 s3, s18, exec_lo
	s_or_b32 s9, s1, s2
	s_and_not1_b32 s2, s47, exec_lo
	s_and_b32 s8, s10, exec_lo
	s_or_b32 s5, s2, s3
	s_and_not1_b32 s2, s49, exec_lo
	s_and_b32 s3, s17, exec_lo
	s_and_not1_b32 s10, s60, exec_lo
	s_and_b32 s11, s11, exec_lo
	s_or_b32 s6, s2, s3
	s_or_b32 s2, s10, s11
	s_and_not1_b32 s3, s48, exec_lo
	s_and_b32 s10, s80, exec_lo
	s_and_not1_b32 s11, s81, exec_lo
	s_and_b32 s0, s0, exec_lo
	s_and_b32 s7, s7, exec_lo
	;; [unrolled: 1-line block ×4, first 2 shown]
	s_or_b32 s3, s3, s10
	s_or_b32 s81, s11, s0
	s_and_not1_b32 s14, s14, exec_lo
.LBB7_191:                              ;   in Loop: Header=BB7_15 Depth=1
	s_or_b32 exec_lo, exec_lo, s15
	s_and_saveexec_b32 s0, s14
	s_cbranch_execz .LBB7_193
; %bb.192:                              ;   in Loop: Header=BB7_15 Depth=1
	v_mov_b64_e32 v[0:1], 0
	s_wait_loadcnt 0x0
	v_mov_b32_e32 v6, v46
	s_or_b32 s81, s81, exec_lo
	scratch_store_b32 off, v46, off offset:38992
	scratch_store_b64 v40, v[0:1], off offset:39000 scale_offset
.LBB7_193:                              ;   in Loop: Header=BB7_15 Depth=1
	s_wait_xcnt 0x0
	s_or_b32 exec_lo, exec_lo, s0
	s_mov_b32 s11, -1
	s_mov_b32 s0, 0
	s_mov_b32 s12, 0
	;; [unrolled: 1-line block ×7, first 2 shown]
	s_and_saveexec_b32 s10, s81
	s_cbranch_execz .LBB7_4
; %bb.194:                              ;   in Loop: Header=BB7_15 Depth=1
	s_wait_loadcnt 0x0
	v_cmp_ne_u32_e64 s0, v6, v46
	s_mov_b32 s13, 0
	s_mov_b32 s11, 0
	s_mov_b32 s12, exec_lo
	v_cmpx_eq_u32_e64 v6, v46
	s_cbranch_execz .LBB7_196
; %bb.195:                              ;   in Loop: Header=BB7_15 Depth=1
	scratch_load_b64 v[0:1], v40, off offset:39000 scale_offset
	s_and_not1_b32 s0, s0, exec_lo
	s_mov_b32 s11, exec_lo
	s_wait_loadcnt 0x0
	v_lshrrev_b32_e32 v0, 1, v0
	s_delay_alu instid0(VALU_DEP_1) | instskip(SKIP_1) | instid1(SALU_CYCLE_1)
	v_cmp_ne_u32_e32 vcc_lo, v0, v1
	s_and_b32 s14, vcc_lo, exec_lo
	s_or_b32 s0, s0, s14
.LBB7_196:                              ;   in Loop: Header=BB7_15 Depth=1
	s_wait_xcnt 0x0
	s_or_b32 exec_lo, exec_lo, s12
	v_mov_b32_e32 v0, 0
	s_mov_b32 s15, s3
	s_mov_b32 s14, s2
	;; [unrolled: 1-line block ×10, first 2 shown]
	s_and_saveexec_b32 s12, s0
	s_cbranch_execz .LBB7_236
; %bb.197:                              ;   in Loop: Header=BB7_15 Depth=1
	s_mov_b32 s0, exec_lo
	v_cmpx_lt_i32_e32 0, v40
	s_cbranch_execz .LBB7_205
; %bb.198:                              ;   in Loop: Header=BB7_15 Depth=1
	v_mov_b32_e32 v94, 0
	s_mov_b32 s14, -1
	s_mov_b32 s13, exec_lo
	v_cmpx_ne_u32_e32 1, v40
	s_cbranch_execz .LBB7_202
; %bb.199:                              ;   in Loop: Header=BB7_15 Depth=1
	v_and_b32_e32 v94, 0x7ffffffe, v40
	v_readlane_b32 s20, v59, 13
	v_readlane_b32 s21, v59, 14
	s_movk_i32 s14, 0x400
	s_mov_b32 s16, 0
	v_mov_b32_e32 v0, v94
	s_mov_b32 s15, 0
	v_readlane_b32 s22, v59, 15
	v_readlane_b32 s23, v59, 16
	;; [unrolled: 1-line block ×6, first 2 shown]
.LBB7_200:                              ;   Parent Loop BB7_15 Depth=1
                                        ; =>  This Inner Loop Header: Depth=2
	global_load_b64 v[2:3], v[120:121], off
	v_add_nc_u32_e32 v0, -2, v0
	s_wait_xcnt 0x0
	v_add_nc_u64_e32 v[120:121], 8, v[120:121]
	s_wait_loadcnt 0x0
	s_clause 0x1
	global_load_b32 v4, v2, s[20:21] scale_offset
	global_load_b32 v5, v3, s[20:21] scale_offset
	v_cmp_eq_u32_e32 vcc_lo, 0, v0
	scratch_store_b64 off, v[2:3], s16
	s_wait_xcnt 0x0
	s_add_co_i32 s16, s16, 8
	s_wait_loadcnt 0x0
	scratch_store_b64 off, v[4:5], s14
	s_wait_xcnt 0x0
	s_add_co_i32 s14, s14, 8
	s_or_b32 s15, vcc_lo, s15
	s_delay_alu instid0(SALU_CYCLE_1)
	s_and_not1_b32 exec_lo, exec_lo, s15
	s_cbranch_execnz .LBB7_200
; %bb.201:                              ;   in Loop: Header=BB7_15 Depth=1
	s_or_b32 exec_lo, exec_lo, s15
	v_cmp_ne_u32_e32 vcc_lo, v40, v94
	s_or_not1_b32 s14, vcc_lo, exec_lo
.LBB7_202:                              ;   in Loop: Header=BB7_15 Depth=1
	s_or_b32 exec_lo, exec_lo, s13
	v_readlane_b32 s24, v59, 13
	v_readlane_b32 s25, v59, 14
	s_and_b32 s13, exec_lo, s14
	v_readlane_b32 s26, v59, 15
	v_readlane_b32 s27, v59, 16
	;; [unrolled: 1-line block ×6, first 2 shown]
	s_mov_b32 exec_lo, s13
	s_cbranch_execz .LBB7_205
; %bb.203:                              ;   in Loop: Header=BB7_15 Depth=1
	v_lshlrev_b64_e32 v[0:1], 2, v[94:95]
	v_readlane_b32 s16, v59, 5
	v_readlane_b32 s18, v59, 7
	;; [unrolled: 1-line block ×3, first 2 shown]
	v_dual_lshlrev_b32 v4, 2, v94 :: v_dual_sub_nc_u32 v2, v40, v94
	s_mov_b32 s13, 0
	v_lshl_add_u64 v[0:1], v[78:79], 2, v[0:1]
	v_readlane_b32 s17, v59, 6
	s_delay_alu instid0(VALU_DEP_3)
	v_add_nc_u32_e32 v3, 0x400, v4
	v_readlane_b32 s20, v59, 9
	v_readlane_b32 s21, v59, 10
	v_add_nc_u64_e32 v[0:1], s[18:19], v[0:1]
	v_readlane_b32 s22, v59, 11
	v_readlane_b32 s23, v59, 12
.LBB7_204:                              ;   Parent Loop BB7_15 Depth=1
                                        ; =>  This Inner Loop Header: Depth=2
	global_load_b32 v5, v[0:1], off
	v_add_nc_u32_e32 v2, -1, v2
	s_wait_xcnt 0x0
	v_add_nc_u64_e32 v[0:1], 4, v[0:1]
	s_wait_loadcnt 0x0
	global_load_b32 v7, v5, s[24:25] scale_offset
	scratch_store_b32 v4, v5, off
	s_wait_xcnt 0x0
	v_add_nc_u32_e32 v4, 4, v4
	v_cmp_eq_u32_e32 vcc_lo, 0, v2
	s_or_b32 s13, vcc_lo, s13
	s_wait_loadcnt 0x0
	scratch_store_b32 v3, v7, off
	s_wait_xcnt 0x0
	v_add_nc_u32_e32 v3, 4, v3
	s_and_not1_b32 exec_lo, exec_lo, s13
	s_cbranch_execnz .LBB7_204
.LBB7_205:                              ;   in Loop: Header=BB7_15 Depth=1
	s_or_b32 exec_lo, exec_lo, s0
	v_mov_b32_e32 v1, 0
	s_mov_b32 s25, -1
	s_mov_b32 s0, 0
	s_mov_b32 s15, s3
	;; [unrolled: 1-line block ×12, first 2 shown]
	s_mov_b32 s13, exec_lo
	v_cmpx_lt_i32_e64 v40, v6
	s_cbranch_execz .LBB7_233
; %bb.206:                              ;   in Loop: Header=BB7_15 Depth=1
	v_dual_mov_b32 v7, 0 :: v_dual_mov_b32 v8, v40
	s_mov_b32 s18, 0
                                        ; implicit-def: $sgpr17
                                        ; implicit-def: $sgpr16
                                        ; implicit-def: $sgpr14
                                        ; implicit-def: $sgpr15
                                        ; implicit-def: $sgpr21
                                        ; implicit-def: $sgpr19
                                        ; implicit-def: $sgpr20
                                        ; implicit-def: $sgpr22
                                        ; implicit-def: $sgpr23
	s_branch .LBB7_212
.LBB7_207:                              ;   in Loop: Header=BB7_212 Depth=2
	s_or_b32 exec_lo, exec_lo, s34
	s_delay_alu instid0(SALU_CYCLE_1)
	s_and_not1_b32 s26, s26, exec_lo
	s_and_b32 s33, s33, exec_lo
	s_and_not1_b32 s29, s29, exec_lo
	s_or_b32 s26, s26, s33
	s_or_not1_b32 s33, s31, exec_lo
.LBB7_208:                              ;   in Loop: Header=BB7_212 Depth=2
	s_or_b32 exec_lo, exec_lo, s30
	s_delay_alu instid0(SALU_CYCLE_1)
	s_and_not1_b32 s28, s28, exec_lo
	s_and_b32 s26, s26, exec_lo
	s_and_not1_b32 s0, s0, exec_lo
	s_and_b32 s29, s29, exec_lo
	s_or_b32 s28, s28, s26
	s_or_b32 s0, s0, s29
	s_or_not1_b32 s26, s33, exec_lo
.LBB7_209:                              ;   in Loop: Header=BB7_212 Depth=2
	s_or_b32 exec_lo, exec_lo, s27
	s_delay_alu instid0(SALU_CYCLE_1)
	s_and_b32 s27, s28, exec_lo
	s_or_not1_b32 s28, s0, exec_lo
	s_or_not1_b32 s0, s26, exec_lo
.LBB7_210:                              ;   in Loop: Header=BB7_212 Depth=2
	s_or_b32 exec_lo, exec_lo, s25
	s_delay_alu instid0(SALU_CYCLE_1)
	s_and_not1_b32 s23, s23, exec_lo
	s_and_b32 s25, s27, exec_lo
	s_and_not1_b32 s22, s22, exec_lo
	s_and_b32 s26, s28, exec_lo
	;; [unrolled: 2-line block ×3, first 2 shown]
	s_or_b32 s23, s23, s25
	s_or_b32 s22, s22, s26
	s_and_not1_b32 s20, s20, exec_lo
	s_or_b32 s19, s19, exec_lo
	s_or_b32 s21, s21, s0
.LBB7_211:                              ;   in Loop: Header=BB7_212 Depth=2
	s_or_b32 exec_lo, exec_lo, s24
	s_xor_b32 s0, s23, -1
	s_xor_b32 s24, s22, -1
	s_and_b32 s25, exec_lo, s21
	s_delay_alu instid0(SALU_CYCLE_1)
	s_or_b32 s18, s25, s18
	s_and_not1_b32 s15, s15, exec_lo
	s_and_b32 s25, s20, exec_lo
	s_and_not1_b32 s14, s14, exec_lo
	s_and_b32 s26, s19, exec_lo
	;; [unrolled: 2-line block ×4, first 2 shown]
	s_or_b32 s15, s15, s25
	s_or_b32 s14, s14, s26
	;; [unrolled: 1-line block ×4, first 2 shown]
	s_and_not1_b32 exec_lo, exec_lo, s18
	s_cbranch_execz .LBB7_230
.LBB7_212:                              ;   Parent Loop BB7_15 Depth=1
                                        ; =>  This Loop Header: Depth=2
                                        ;       Child Loop BB7_218 Depth 3
	scratch_load_b64 v[0:1], v8, off offset:39000 scale_offset
	s_and_not1_b32 s23, s23, exec_lo
	s_or_b32 s22, s22, exec_lo
	s_or_b32 s20, s20, exec_lo
	s_and_not1_b32 s19, s19, exec_lo
	s_or_b32 s21, s21, exec_lo
	s_mov_b32 s24, exec_lo
	s_wait_loadcnt 0x0
	v_lshrrev_b32_e32 v2, 1, v0
	s_wait_xcnt 0x0
	s_delay_alu instid0(VALU_DEP_1)
	v_cmpx_gt_i32_e64 v2, v1
	s_cbranch_execz .LBB7_211
; %bb.213:                              ;   in Loop: Header=BB7_212 Depth=2
	v_dual_ashrrev_i32 v9, 1, v1 :: v_dual_lshrrev_b32 v10, 2, v0
	s_mov_b32 s0, -1
	s_mov_b32 s27, 0
	s_mov_b32 s28, -1
	s_mov_b32 s25, exec_lo
	v_max_i32_e32 v2, v10, v9
	s_delay_alu instid0(VALU_DEP_1)
	v_cmpx_lt_i32_e64 v2, v8
	s_cbranch_execz .LBB7_210
; %bb.214:                              ;   in Loop: Header=BB7_212 Depth=2
	s_clause 0x1
	scratch_load_b32 v2, v9, off scale_offset
	scratch_load_b32 v3, v10, off scale_offset
	v_mov_b32_e32 v4, -1
	s_mov_b32 s26, -1
	s_mov_b32 s28, 0
	s_mov_b32 s29, -1
	s_wait_loadcnt 0x1
	v_cmp_ne_u32_e32 vcc_lo, -1, v2
	s_wait_loadcnt 0x0
	v_cmp_ne_u32_e64 s0, -1, v3
	s_and_b32 s30, vcc_lo, s0
	s_mov_b32 s0, -1
	s_wait_xcnt 0x0
	s_and_saveexec_b32 s27, s30
	s_cbranch_execz .LBB7_224
; %bb.215:                              ;   in Loop: Header=BB7_212 Depth=2
	v_and_b32_e32 v1, 1, v1
	v_bfe_u32 v0, v0, 1, 1
	v_readlane_b32 s38, v58, 2
	v_readlane_b32 s39, v58, 3
	;; [unrolled: 1-line block ×3, first 2 shown]
	v_lshl_or_b32 v2, v2, 1, v1
	v_lshl_or_b32 v0, v3, 1, v0
	s_cvt_f32_u32 s0, s38
	s_cvt_f32_u32 s28, s39
	v_readlane_b32 s45, v58, 5
	v_readlane_b32 s36, v59, 27
	v_min_i32_e32 v1, v2, v0
	v_max_i32_e32 v0, v2, v0
	s_fmamk_f32 s0, s28, 0x4f800000, s0
	v_readlane_b32 s37, v59, 28
	s_delay_alu instid0(VALU_DEP_3) | instskip(SKIP_2) | instid1(VALU_DEP_3)
	v_dual_mov_b32 v19, v95 :: v_dual_lshrrev_b32 v2, 1, v1
	v_mov_b32_e32 v3, v1
	v_s_rcp_f32 s0, s0
	s_mov_b32 s41, s37
	s_delay_alu instid0(VALU_DEP_2) | instskip(NEXT) | instid1(VALU_DEP_1)
	v_dual_mov_b32 v5, v95 :: v_dual_bitop2_b32 v2, v0, v2 bitop3:0x14
	v_mul_u64_e32 v[2:3], 0xff51afd7ed558ccd, v[2:3]
	s_delay_alu instid0(TRANS32_DEP_1) | instskip(NEXT) | instid1(SALU_CYCLE_3)
	s_mul_f32 s0, s0, 0x5f7ffffc
	s_mul_f32 s28, s0, 0x2f800000
	s_delay_alu instid0(SALU_CYCLE_3) | instskip(NEXT) | instid1(SALU_CYCLE_3)
	s_trunc_f32 s28, s28
	s_fmamk_f32 s0, s28, 0xcf800000, s0
	s_cvt_u32_f32 s29, s28
	s_delay_alu instid0(SALU_CYCLE_2) | instskip(NEXT) | instid1(SALU_CYCLE_3)
	s_cvt_u32_f32 s28, s0
	s_mul_u64 s[30:31], s[44:45], s[28:29]
	s_delay_alu instid0(SALU_CYCLE_1)
	s_mul_hi_u32 s35, s28, s31
	s_mul_i32 s34, s28, s31
	s_mul_hi_u32 s40, s28, s30
	s_mul_i32 s33, s29, s30
	s_add_nc_u64 s[34:35], s[40:41], s[34:35]
	s_mul_hi_u32 s0, s29, s30
	s_mul_hi_u32 s36, s29, s31
	s_mul_i32 s30, s29, s31
	s_add_co_u32 s31, s34, s33
	s_delay_alu instid0(VALU_DEP_1) | instskip(SKIP_2) | instid1(SALU_CYCLE_1)
	v_lshrrev_b32_e32 v4, 1, v3
	s_add_co_ci_u32 s40, s35, s0
	s_add_co_ci_u32 s31, s36, 0
	s_add_nc_u64 s[30:31], s[40:41], s[30:31]
	s_delay_alu instid0(VALU_DEP_1) | instskip(SKIP_2) | instid1(SALU_CYCLE_1)
	v_xor_b32_e32 v2, v4, v2
	s_add_co_u32 s28, s28, s30
	s_cselect_b32 s0, -1, 0
	s_cmp_lg_u32 s0, 0
	s_delay_alu instid0(VALU_DEP_1) | instskip(SKIP_1) | instid1(SALU_CYCLE_1)
	v_mul_u64_e32 v[2:3], 0xc4ceb9fe1a85ec53, v[2:3]
	s_add_co_ci_u32 s29, s29, s31
	s_mul_u64 s[30:31], s[44:45], s[28:29]
	s_delay_alu instid0(SALU_CYCLE_1)
	s_mul_hi_u32 s35, s28, s31
	s_mul_i32 s34, s28, s31
	s_mul_hi_u32 s40, s28, s30
	s_mul_i32 s33, s29, s30
	s_add_nc_u64 s[34:35], s[40:41], s[34:35]
	s_mul_hi_u32 s0, s29, s30
	s_mul_hi_u32 s36, s29, s31
	s_mul_i32 s30, s29, s31
	s_add_co_u32 s31, s34, s33
	s_add_co_ci_u32 s40, s35, s0
	s_add_co_ci_u32 s31, s36, 0
	s_delay_alu instid0(SALU_CYCLE_1) | instskip(NEXT) | instid1(SALU_CYCLE_1)
	s_add_nc_u64 s[30:31], s[40:41], s[30:31]
	s_add_co_u32 s28, s28, s30
	s_cselect_b32 s0, -1, 0
	s_delay_alu instid0(SALU_CYCLE_1)
	s_cmp_lg_u32 s0, 0
	s_add_co_ci_u32 s29, s29, s31
	s_mov_b64 s[30:31], 0xffffffff
	s_mov_b32 s40, s29
	s_and_b64 s[30:31], s[28:29], s[30:31]
	s_mov_b32 s29, s37
	v_writelane_b32 v59, s28, 27
	s_delay_alu instid0(VALU_DEP_2) | instskip(SKIP_1) | instid1(VALU_DEP_2)
	v_dual_lshrrev_b32 v4, 1, v3 :: v_dual_mov_b32 v94, v3
	v_writelane_b32 v59, s29, 28
	v_xor_b32_e32 v4, v4, v2
	s_delay_alu instid0(VALU_DEP_3) | instskip(SKIP_1) | instid1(VALU_DEP_3)
	v_mul_u64_e32 v[14:15], s[30:31], v[94:95]
	v_mul_u64_e32 v[16:17], s[40:41], v[94:95]
	v_mul_u64_e32 v[12:13], s[40:41], v[4:5]
	v_mul_hi_u32 v18, v4, s28
	v_readlane_b32 s28, v59, 1
	v_readlane_b32 s29, v59, 2
	;; [unrolled: 1-line block ×4, first 2 shown]
	v_add_nc_u64_e32 v[12:13], v[18:19], v[12:13]
	s_delay_alu instid0(VALU_DEP_1) | instskip(NEXT) | instid1(VALU_DEP_2)
	v_add_co_u32 v2, vcc_lo, v12, v14
	v_add_co_ci_u32_e32 v94, vcc_lo, v13, v15, vcc_lo
	v_add_co_ci_u32_e32 v17, vcc_lo, 0, v17, vcc_lo
	s_delay_alu instid0(VALU_DEP_1) | instskip(NEXT) | instid1(VALU_DEP_1)
	v_add_nc_u64_e32 v[12:13], v[94:95], v[16:17]
	v_mul_u64_e32 v[12:13], s[38:39], v[12:13]
	s_delay_alu instid0(VALU_DEP_1) | instskip(NEXT) | instid1(VALU_DEP_2)
	v_sub_nc_u32_e32 v2, v3, v13
	v_sub_co_u32 v4, vcc_lo, v4, v12
	s_delay_alu instid0(VALU_DEP_1) | instskip(NEXT) | instid1(VALU_DEP_3)
	v_sub_co_ci_u32_e64 v3, null, v3, v13, vcc_lo
	v_subrev_co_ci_u32_e64 v2, null, s39, v2, vcc_lo
	s_delay_alu instid0(VALU_DEP_3) | instskip(SKIP_1) | instid1(VALU_DEP_3)
	v_sub_co_u32 v5, vcc_lo, v4, s38
	v_cmp_le_u32_e64 s0, s38, v4
	v_subrev_co_ci_u32_e64 v11, null, 0, v2, vcc_lo
	v_subrev_co_ci_u32_e64 v2, null, s39, v2, vcc_lo
	s_delay_alu instid0(VALU_DEP_3) | instskip(SKIP_2) | instid1(VALU_DEP_2)
	v_cndmask_b32_e64 v12, 0, -1, s0
	v_cmp_le_u32_e64 s0, s38, v5
	v_cmp_le_u32_e32 vcc_lo, s39, v3
	v_cndmask_b32_e64 v13, 0, -1, s0
	v_cmp_le_u32_e64 s0, s39, v11
	v_cndmask_b32_e64 v15, 0, -1, vcc_lo
	v_cmp_eq_u32_e32 vcc_lo, s39, v11
	s_delay_alu instid0(VALU_DEP_3) | instskip(SKIP_1) | instid1(VALU_DEP_2)
	v_cndmask_b32_e64 v14, 0, -1, s0
	v_cmp_eq_u32_e64 s0, s39, v3
	v_cndmask_b32_e32 v13, v14, v13, vcc_lo
	v_sub_co_u32 v14, vcc_lo, v5, s38
	s_delay_alu instid0(VALU_DEP_1) | instskip(NEXT) | instid1(VALU_DEP_3)
	v_subrev_co_ci_u32_e64 v2, null, 0, v2, vcc_lo
	v_cmp_ne_u32_e32 vcc_lo, 0, v13
	s_delay_alu instid0(VALU_DEP_3) | instskip(NEXT) | instid1(VALU_DEP_3)
	v_dual_cndmask_b32 v5, v5, v14, vcc_lo :: v_dual_cndmask_b32 v12, v15, v12, s0
	v_cndmask_b32_e32 v2, v11, v2, vcc_lo
	s_mov_b32 s0, exec_lo
	s_delay_alu instid0(VALU_DEP_2) | instskip(NEXT) | instid1(VALU_DEP_2)
	v_cmp_ne_u32_e32 vcc_lo, 0, v12
	v_dual_cndmask_b32 v3, v3, v2 :: v_dual_cndmask_b32 v2, v4, v5
	s_delay_alu instid0(VALU_DEP_1)
	v_lshl_add_u64 v[4:5], v[2:3], 3, s[28:29]
	s_mov_b32 s28, -1
	global_load_b64 v[4:5], v[4:5], off
	s_wait_loadcnt 0x0
	s_wait_xcnt 0x0
	v_cmpx_ne_u64_e64 v[4:5], v[0:1]
	s_cbranch_execz .LBB7_221
; %bb.216:                              ;   in Loop: Header=BB7_212 Depth=2
	s_mov_b32 s28, 0
                                        ; implicit-def: $sgpr29
                                        ; implicit-def: $sgpr31
                                        ; implicit-def: $sgpr30
	s_branch .LBB7_218
.LBB7_217:                              ;   in Loop: Header=BB7_218 Depth=3
	s_wait_xcnt 0x0
	s_or_b32 exec_lo, exec_lo, s33
	s_xor_b32 s33, s30, -1
	s_and_b32 s34, exec_lo, s31
	s_delay_alu instid0(SALU_CYCLE_1) | instskip(SKIP_2) | instid1(SALU_CYCLE_1)
	s_or_b32 s28, s34, s28
	s_and_not1_b32 s29, s29, exec_lo
	s_and_b32 s33, s33, exec_lo
	s_or_b32 s29, s29, s33
	s_and_not1_b32 exec_lo, exec_lo, s28
	s_cbranch_execz .LBB7_220
.LBB7_218:                              ;   Parent Loop BB7_15 Depth=1
                                        ;     Parent Loop BB7_212 Depth=2
                                        ; =>    This Inner Loop Header: Depth=3
	v_cmp_ne_u64_e32 vcc_lo, -1, v[4:5]
	s_or_b32 s30, s30, exec_lo
	s_or_b32 s31, s31, exec_lo
                                        ; implicit-def: $vgpr4_vgpr5
	s_and_saveexec_b32 s33, vcc_lo
	s_cbranch_execz .LBB7_217
; %bb.219:                              ;   in Loop: Header=BB7_218 Depth=3
	v_add_nc_u64_e32 v[2:3], 1, v[2:3]
	v_readlane_b32 s34, v58, 2
	v_readlane_b32 s35, v58, 3
	;; [unrolled: 1-line block ×4, first 2 shown]
	s_and_not1_b32 s31, s31, exec_lo
	s_and_not1_b32 s30, s30, exec_lo
	v_cmp_ne_u64_e32 vcc_lo, s[34:35], v[2:3]
	v_readlane_b32 s38, v59, 3
	v_readlane_b32 s39, v59, 4
	v_dual_cndmask_b32 v3, 0, v3 :: v_dual_cndmask_b32 v2, 0, v2
	s_delay_alu instid0(VALU_DEP_1) | instskip(SKIP_4) | instid1(SALU_CYCLE_1)
	v_lshl_add_u64 v[4:5], v[2:3], 3, s[36:37]
	global_load_b64 v[4:5], v[4:5], off
	s_wait_loadcnt 0x0
	v_cmp_eq_u64_e32 vcc_lo, v[4:5], v[0:1]
	s_and_b32 s34, vcc_lo, exec_lo
	s_or_b32 s31, s31, s34
	s_branch .LBB7_217
.LBB7_220:                              ;   in Loop: Header=BB7_212 Depth=2
	s_or_b32 exec_lo, exec_lo, s28
	s_delay_alu instid0(SALU_CYCLE_1)
	s_or_not1_b32 s28, s29, exec_lo
.LBB7_221:                              ;   in Loop: Header=BB7_212 Depth=2
	s_or_b32 exec_lo, exec_lo, s0
	v_mov_b32_e32 v4, -1
	s_and_saveexec_b32 s0, s28
	s_cbranch_execz .LBB7_223
; %bb.222:                              ;   in Loop: Header=BB7_212 Depth=2
	v_readlane_b32 s28, v59, 1
	v_readlane_b32 s30, v59, 3
	v_readlane_b32 s31, v59, 4
	v_readlane_b32 s29, v59, 2
	s_delay_alu instid0(VALU_DEP_2)
	v_lshl_add_u64 v[0:1], v[2:3], 2, s[30:31]
	global_load_b32 v4, v[0:1], off
.LBB7_223:                              ;   in Loop: Header=BB7_212 Depth=2
	s_wait_xcnt 0x0
	s_or_b32 exec_lo, exec_lo, s0
	s_wait_loadcnt 0x0
	v_cmp_ne_u32_e32 vcc_lo, v4, v44
	s_mov_b32 s28, exec_lo
	s_xor_b32 s0, exec_lo, -1
	s_or_not1_b32 s29, vcc_lo, exec_lo
.LBB7_224:                              ;   in Loop: Header=BB7_212 Depth=2
	s_or_b32 exec_lo, exec_lo, s27
	s_and_saveexec_b32 s27, s29
	s_cbranch_execz .LBB7_209
; %bb.225:                              ;   in Loop: Header=BB7_212 Depth=2
	v_cmp_ne_u32_e64 s31, -1, v4
	s_mov_b32 s29, s0
	s_mov_b32 s26, s28
	s_mov_b32 s30, exec_lo
	v_cmpx_eq_u32_e32 -1, v4
; %bb.226:                              ;   in Loop: Header=BB7_212 Depth=2
	v_add_nc_u32_e32 v0, 1, v7
	v_cmp_lt_i32_e32 vcc_lo, v7, v45
	s_and_not1_b32 s31, s31, exec_lo
	s_or_b32 s26, s28, exec_lo
	s_and_not1_b32 s29, s0, exec_lo
	v_mov_b32_e32 v7, v0
	s_and_b32 s33, vcc_lo, exec_lo
	s_delay_alu instid0(SALU_CYCLE_1)
	s_or_b32 s31, s31, s33
; %bb.227:                              ;   in Loop: Header=BB7_212 Depth=2
	s_or_b32 exec_lo, exec_lo, s30
	s_mov_b32 s33, -1
	s_and_saveexec_b32 s30, s31
	s_cbranch_execz .LBB7_208
; %bb.228:                              ;   in Loop: Header=BB7_212 Depth=2
	s_clause 0x1
	scratch_load_b32 v0, v9, off offset:1024 scale_offset
	scratch_load_b32 v1, v10, off offset:1024 scale_offset
	s_mov_b32 s31, -1
	s_mov_b32 s34, exec_lo
	s_wait_loadcnt 0x0
	v_max_i32_e32 v0, v0, v1
	s_delay_alu instid0(VALU_DEP_1)
	v_add_nc_u32_e32 v1, 1, v0
	scratch_store_b32 v8, v1, off offset:1024 scale_offset
	s_wait_xcnt 0x0
	v_cmpx_gt_i32_e32 0x3b9aca00, v0
	s_cbranch_execz .LBB7_207
; %bb.229:                              ;   in Loop: Header=BB7_212 Depth=2
	scratch_store_b32 v8, v4, off scale_offset
	s_wait_xcnt 0x0
	v_add_nc_u32_e32 v8, 1, v8
	s_xor_b32 s33, exec_lo, -1
	s_delay_alu instid0(VALU_DEP_1)
	v_cmp_ge_i32_e32 vcc_lo, v8, v6
	s_or_not1_b32 s31, vcc_lo, exec_lo
	s_branch .LBB7_207
.LBB7_230:                              ;   in Loop: Header=BB7_15 Depth=1
	s_or_b32 exec_lo, exec_lo, s18
	v_mov_b32_e32 v1, 0
	s_mov_b32 s25, 0
	s_mov_b32 s0, 0
	s_and_saveexec_b32 s18, s17
	s_delay_alu instid0(SALU_CYCLE_1)
	s_xor_b32 s17, exec_lo, s18
; %bb.231:                              ;   in Loop: Header=BB7_15 Depth=1
	v_mov_b32_e32 v1, v7
	s_mov_b32 s0, exec_lo
	s_and_b32 s25, s16, exec_lo
; %bb.232:                              ;   in Loop: Header=BB7_15 Depth=1
	s_or_b32 exec_lo, exec_lo, s17
	s_delay_alu instid0(SALU_CYCLE_1)
	s_and_not1_b32 s23, s9, exec_lo
	s_and_b32 s20, s14, exec_lo
	s_and_b32 s21, s15, exec_lo
	s_and_not1_b32 s24, s8, exec_lo
	s_and_not1_b32 s22, s7, exec_lo
	;; [unrolled: 1-line block ×8, first 2 shown]
	s_and_b32 s0, s0, exec_lo
	s_or_not1_b32 s25, s25, exec_lo
.LBB7_233:                              ;   in Loop: Header=BB7_15 Depth=1
	s_or_b32 exec_lo, exec_lo, s13
	v_mov_b32_e32 v0, -1
	s_and_saveexec_b32 s13, s25
	s_cbranch_execz .LBB7_235
; %bb.234:                              ;   in Loop: Header=BB7_15 Depth=1
	scratch_load_b32 v42, v6, off offset:1020 scale_offset
	v_mov_b32_e32 v0, v1
	s_or_b32 s0, s0, exec_lo
.LBB7_235:                              ;   in Loop: Header=BB7_15 Depth=1
	s_wait_xcnt 0x0
	s_or_b32 exec_lo, exec_lo, s13
	s_delay_alu instid0(SALU_CYCLE_1)
	s_and_not1_b32 s13, s9, exec_lo
	s_and_b32 s23, s23, exec_lo
	s_and_not1_b32 s25, s8, exec_lo
	s_and_b32 s24, s24, exec_lo
	s_or_b32 s23, s13, s23
	s_and_b32 s13, s21, exec_lo
	s_or_b32 s21, s25, s24
	s_and_not1_b32 s24, s7, exec_lo
	s_and_b32 s22, s22, exec_lo
	s_and_not1_b32 s25, s4, exec_lo
	s_and_b32 s18, s18, exec_lo
	s_or_b32 s22, s24, s22
	s_and_not1_b32 s24, s1, exec_lo
	s_and_b32 s19, s19, exec_lo
	s_or_b32 s18, s25, s18
	;; [unrolled: 3-line block ×5, first 2 shown]
	s_and_not1_b32 s24, s3, exec_lo
	s_and_b32 s15, s15, exec_lo
	s_and_not1_b32 s11, s11, exec_lo
	s_and_b32 s0, s0, exec_lo
	s_and_b32 s20, s20, exec_lo
	s_or_b32 s14, s25, s14
	s_or_b32 s15, s24, s15
	;; [unrolled: 1-line block ×3, first 2 shown]
.LBB7_236:                              ;   in Loop: Header=BB7_15 Depth=1
	s_or_b32 exec_lo, exec_lo, s12
	s_mov_b32 s24, -1
	s_mov_b32 s34, 0
	s_mov_b32 s35, 0
	;; [unrolled: 1-line block ×5, first 2 shown]
	s_and_saveexec_b32 s12, s11
	s_cbranch_execz .LBB7_3
; %bb.237:                              ;   in Loop: Header=BB7_15 Depth=1
	v_ashrrev_i32_e32 v2, 31, v47
	s_mov_b32 s11, exec_lo
	v_cmpx_lt_i32_e32 -1, v0
	s_cbranch_execz .LBB7_249
; %bb.238:                              ;   in Loop: Header=BB7_15 Depth=1
	v_mov_b32_e32 v1, 1
	s_mov_b32 s24, exec_lo
	v_cmpx_ne_u32_e32 -1, v47
	s_cbranch_execz .LBB7_248
; %bb.239:                              ;   in Loop: Header=BB7_15 Depth=1
	s_mov_b32 s0, -1
	s_mov_b32 s25, exec_lo
	v_cmpx_ge_i32_e64 v0, v47
	s_cbranch_execz .LBB7_245
; %bb.240:                              ;   in Loop: Header=BB7_15 Depth=1
	s_mov_b32 s0, 0
	s_mov_b32 s26, exec_lo
	v_cmpx_eq_u32_e64 v0, v47
	s_cbranch_execz .LBB7_244
; %bb.241:                              ;   in Loop: Header=BB7_15 Depth=1
	scratch_load_b64 v[0:1], v6, off offset:38992 scale_offset
	s_mov_b64 s[28:29], 0x200000000
	s_mov_b32 s27, exec_lo
	s_wait_loadcnt 0x0
	v_cmpx_gt_u64_e64 s[28:29], v[0:1]
; %bb.242:                              ;   in Loop: Header=BB7_15 Depth=1
	v_dual_lshrrev_b32 v3, 1, v0 :: v_dual_bitop2_b32 v0, 1, v0 bitop3:0x40
	s_delay_alu instid0(VALU_DEP_1) | instskip(NEXT) | instid1(VALU_DEP_2)
	v_cmp_eq_u32_e32 vcc_lo, v3, v1
	v_cmp_eq_u32_e64 s0, v0, v1
	s_and_b32 s0, vcc_lo, s0
	s_delay_alu instid0(SALU_CYCLE_1)
	s_and_b32 s0, s0, exec_lo
; %bb.243:                              ;   in Loop: Header=BB7_15 Depth=1
	s_or_b32 exec_lo, exec_lo, s27
	v_cmp_lt_i32_e32 vcc_lo, v42, v43
	s_or_b32 s0, s0, vcc_lo
	s_delay_alu instid0(SALU_CYCLE_1)
	s_and_b32 s0, s0, exec_lo
.LBB7_244:                              ;   in Loop: Header=BB7_15 Depth=1
	s_or_b32 exec_lo, exec_lo, s26
	s_delay_alu instid0(SALU_CYCLE_1)
	s_or_not1_b32 s0, s0, exec_lo
.LBB7_245:                              ;   in Loop: Header=BB7_15 Depth=1
	s_or_b32 exec_lo, exec_lo, s25
	s_and_saveexec_b32 s25, s0
; %bb.246:                              ;   in Loop: Header=BB7_15 Depth=1
	v_mov_b32_e32 v2, 1
; %bb.247:                              ;   in Loop: Header=BB7_15 Depth=1
	s_or_b32 exec_lo, exec_lo, s25
	s_delay_alu instid0(VALU_DEP_1)
	v_mov_b32_e32 v1, v2
.LBB7_248:                              ;   in Loop: Header=BB7_15 Depth=1
	s_or_b32 exec_lo, exec_lo, s24
	s_delay_alu instid0(VALU_DEP_1)
	v_mov_b32_e32 v2, v1
.LBB7_249:                              ;   in Loop: Header=BB7_15 Depth=1
	s_or_b32 exec_lo, exec_lo, s11
	s_mov_b32 s40, 0
	s_mov_b32 s0, s15
	;; [unrolled: 1-line block ×12, first 2 shown]
	s_mov_b32 s11, exec_lo
	v_cmpx_ne_u32_e32 -1, v2
	s_xor_b32 s11, exec_lo, s11
	s_cbranch_execz .LBB7_269
; %bb.250:                              ;   in Loop: Header=BB7_15 Depth=1
	s_clause 0x1
	scratch_load_b32 v0, off, off offset:36936
	scratch_load_b32 v1, off, off offset:38992
	v_cmp_eq_u32_e32 vcc_lo, 0, v2
	v_readlane_b32 s24, v59, 13
	v_readlane_b32 s30, v59, 19
	;; [unrolled: 1-line block ×7, first 2 shown]
	s_mov_b32 s25, -1
	s_mov_b32 s39, 0
	s_mov_b32 s26, 0
	;; [unrolled: 1-line block ×4, first 2 shown]
	s_mov_b32 s24, exec_lo
	v_readlane_b32 s29, v59, 18
	s_wait_loadcnt 0x0
	v_cndmask_b32_e32 v2, v1, v0, vcc_lo
	v_lshl_add_u64 v[0:1], v[104:105], 2, s[30:31]
	s_delay_alu instid0(VALU_DEP_2)
	v_sub_nc_u32_e32 v3, v2, v40
	global_store_b32 v[0:1], v3, off
	s_wait_xcnt 0x0
	v_cmpx_lt_i32_e32 0, v3
	s_cbranch_execz .LBB7_268
; %bb.251:                              ;   in Loop: Header=BB7_15 Depth=1
	v_readlane_b32 s52, v59, 13
	v_readlane_b32 s56, v59, 17
	;; [unrolled: 1-line block ×3, first 2 shown]
	s_mov_b32 s26, -1
	s_mov_b32 s29, 0
	s_mov_b32 s30, 0
	;; [unrolled: 1-line block ×3, first 2 shown]
	v_lshl_add_u64 v[0:1], v[104:105], 2, s[56:57]
	s_mov_b32 s25, exec_lo
	v_readlane_b32 s53, v59, 14
	v_readlane_b32 s54, v59, 15
	;; [unrolled: 1-line block ×3, first 2 shown]
	global_load_b32 v3, v[0:1], off
	v_readlane_b32 s58, v59, 19
	v_readlane_b32 s59, v59, 20
	s_wait_loadcnt 0x0
	v_cmpx_eq_u32_e32 -1, v3
	s_cbranch_execz .LBB7_267
; %bb.252:                              ;   in Loop: Header=BB7_15 Depth=1
	s_mov_b32 s27, -1
	s_mov_b32 s29, -1
	s_mov_b32 s26, exec_lo
	global_store_b32 v[0:1], v95, off
	s_wait_xcnt 0x0
	v_cmpx_gt_i32_e64 v2, v40
	s_cbranch_execz .LBB7_266
; %bb.253:                              ;   in Loop: Header=BB7_15 Depth=1
	v_readlane_b32 s0, v58, 0
	v_mov_b32_e32 v4, v104
                                        ; implicit-def: $sgpr28
                                        ; implicit-def: $sgpr29
                                        ; implicit-def: $sgpr27
                                        ; implicit-def: $sgpr30
                                        ; implicit-def: $sgpr31
	s_delay_alu instid0(VALU_DEP_2) | instskip(SKIP_1) | instid1(VALU_DEP_1)
	v_dual_mov_b32 v1, 0 :: v_dual_cndmask_b32 v0, s0, v41
	s_mov_b32 s0, 0
	v_lshl_add_u32 v3, v40, 3, v0
	s_branch .LBB7_255
.LBB7_254:                              ;   in Loop: Header=BB7_255 Depth=2
	s_wait_xcnt 0x0
	s_or_b32 exec_lo, exec_lo, s34
	s_xor_b32 s34, s36, -1
	s_and_b32 s33, exec_lo, s33
	s_delay_alu instid0(SALU_CYCLE_1)
	s_or_b32 s0, s33, s0
	s_and_not1_b32 s27, s27, exec_lo
	s_and_b32 s33, s34, exec_lo
	s_and_not1_b32 s29, s29, exec_lo
	s_or_b32 s27, s27, s33
	s_and_b32 s33, s31, exec_lo
	s_and_not1_b32 s28, s28, exec_lo
	s_and_b32 s34, s30, exec_lo
	s_or_b32 s29, s29, s33
	s_or_b32 s28, s28, s34
	s_and_not1_b32 exec_lo, exec_lo, s0
	s_cbranch_execz .LBB7_265
.LBB7_255:                              ;   Parent Loop BB7_15 Depth=1
                                        ; =>  This Inner Loop Header: Depth=2
	s_mov_b32 s33, -1
	s_mov_b32 s35, -1
	s_mov_b32 s34, exec_lo
	v_cmpx_eq_u32_e32 8, v1
	s_cbranch_execz .LBB7_263
; %bb.256:                              ;   in Loop: Header=BB7_255 Depth=2
	s_mov_b32 s36, exec_lo
	s_mov_b32 s35, exec_lo
	v_mbcnt_lo_u32_b32 v0, s36, 0
                                        ; implicit-def: $vgpr1
	s_delay_alu instid0(VALU_DEP_1)
	v_cmpx_eq_u32_e32 0, v0
	s_cbranch_execz .LBB7_258
; %bb.257:                              ;   in Loop: Header=BB7_255 Depth=2
	s_bcnt1_i32_b32 s36, s36
	s_delay_alu instid0(SALU_CYCLE_1)
	v_mov_b32_e32 v1, s36
	v_readlane_b32 s36, v59, 23
	v_readlane_b32 s37, v59, 24
	v_readlane_b32 s38, v59, 25
	v_readlane_b32 s39, v59, 26
	global_atomic_add_u32 v1, v95, v1, s[36:37] th:TH_ATOMIC_RETURN scope:SCOPE_DEV
.LBB7_258:                              ;   in Loop: Header=BB7_255 Depth=2
	s_wait_xcnt 0x0
	s_or_b32 exec_lo, exec_lo, s35
	s_wait_loadcnt 0x0
	v_readfirstlane_b32 s35, v1
	s_mov_b32 s36, 0
	s_mov_b32 s38, -1
	s_mov_b32 s37, 0
	v_add_nc_u32_e32 v0, s35, v0
	v_readlane_b32 s35, v58, 1
	s_delay_alu instid0(VALU_DEP_1)
	v_cmp_gt_i32_e32 vcc_lo, s35, v0
	s_and_saveexec_b32 s35, vcc_lo
	s_cbranch_execz .LBB7_262
; %bb.259:                              ;   in Loop: Header=BB7_255 Depth=2
	v_readlane_b32 s52, v59, 13
	v_readlane_b32 s56, v59, 17
	;; [unrolled: 1-line block ×3, first 2 shown]
	s_mov_b32 s37, exec_lo
	v_readlane_b32 s53, v59, 14
	v_readlane_b32 s54, v59, 15
	;; [unrolled: 1-line block ×3, first 2 shown]
	global_load_b32 v1, v0, s[56:57] scale_offset
	v_readlane_b32 s58, v59, 19
	v_readlane_b32 s59, v59, 20
	s_wait_loadcnt 0x0
	v_cmpx_eq_u32_e32 -1, v1
	s_cbranch_execz .LBB7_261
; %bb.260:                              ;   in Loop: Header=BB7_255 Depth=2
	v_readlane_b32 s52, v59, 13
	v_ashrrev_i32_e32 v1, 31, v0
	v_readlane_b32 s56, v59, 17
	v_readlane_b32 s57, v59, 18
	s_mov_b32 s36, exec_lo
	v_readlane_b32 s53, v59, 14
	v_readlane_b32 s54, v59, 15
	;; [unrolled: 1-line block ×3, first 2 shown]
	v_lshl_add_u64 v[6:7], v[0:1], 2, s[56:57]
	v_readlane_b32 s58, v59, 19
	v_readlane_b32 s59, v59, 20
	s_clause 0x1
	global_store_b32 v4, v0, s[56:57] scale_offset
	global_store_b32 v[6:7], v95, off
.LBB7_261:                              ;   in Loop: Header=BB7_255 Depth=2
	s_wait_xcnt 0x0
	s_or_b32 exec_lo, exec_lo, s37
	s_delay_alu instid0(SALU_CYCLE_1)
	s_mov_b32 s37, exec_lo
	s_xor_b32 s38, exec_lo, -1
	s_and_b32 s36, s36, exec_lo
.LBB7_262:                              ;   in Loop: Header=BB7_255 Depth=2
	s_or_b32 exec_lo, exec_lo, s35
	v_dual_mov_b32 v1, 0 :: v_dual_mov_b32 v4, v0
	s_and_not1_b32 s31, s31, exec_lo
	s_and_b32 s35, s38, exec_lo
	s_and_not1_b32 s30, s30, exec_lo
	s_and_b32 s37, s37, exec_lo
	s_or_b32 s31, s31, s35
	s_or_b32 s30, s30, s37
	s_or_not1_b32 s35, s36, exec_lo
.LBB7_263:                              ;   in Loop: Header=BB7_255 Depth=2
	s_or_b32 exec_lo, exec_lo, s34
	s_mov_b32 s36, -1
	s_and_saveexec_b32 s34, s35
	s_cbranch_execz .LBB7_254
; %bb.264:                              ;   in Loop: Header=BB7_255 Depth=2
	scratch_load_b64 v[6:7], v3, off
	v_dual_add_nc_u32 v40, 1, v40 :: v_dual_add_nc_u32 v0, 1, v1
	v_readlane_b32 s52, v59, 13
	v_lshl_add_u32 v5, v4, 3, v1
	s_wait_xcnt 0x0
	v_add_nc_u32_e32 v3, 8, v3
	v_cmp_ge_i32_e32 vcc_lo, v40, v2
	v_mov_b32_e32 v1, v0
	v_readlane_b32 s54, v59, 15
	v_readlane_b32 s55, v59, 16
	s_xor_b32 s36, exec_lo, -1
	s_or_not1_b32 s33, vcc_lo, exec_lo
	v_readlane_b32 s53, v59, 14
	v_readlane_b32 s56, v59, 17
	;; [unrolled: 1-line block ×5, first 2 shown]
	s_wait_loadcnt 0x0
	global_store_b64 v5, v[6:7], s[54:55] scale_offset
	s_branch .LBB7_254
.LBB7_265:                              ;   in Loop: Header=BB7_15 Depth=1
	s_or_b32 exec_lo, exec_lo, s0
	s_delay_alu instid0(SALU_CYCLE_1)
	s_and_b32 s30, s28, exec_lo
	s_and_b32 s28, s29, exec_lo
	s_xor_b32 s29, exec_lo, -1
	s_or_not1_b32 s27, s27, exec_lo
.LBB7_266:                              ;   in Loop: Header=BB7_15 Depth=1
	s_or_b32 exec_lo, exec_lo, s26
	s_delay_alu instid0(SALU_CYCLE_1)
	s_and_b32 s31, s30, exec_lo
	s_and_b32 s30, s28, exec_lo
	s_or_not1_b32 s26, s29, exec_lo
	s_and_b32 s29, s27, exec_lo
.LBB7_267:                              ;   in Loop: Header=BB7_15 Depth=1
	s_or_b32 exec_lo, exec_lo, s25
	s_delay_alu instid0(SALU_CYCLE_1)
	s_and_b32 s28, s31, exec_lo
	s_and_b32 s27, s30, exec_lo
	;; [unrolled: 1-line block ×3, first 2 shown]
	s_xor_b32 s25, exec_lo, -1
	s_and_b32 s39, s29, exec_lo
.LBB7_268:                              ;   in Loop: Header=BB7_15 Depth=1
	s_or_b32 exec_lo, exec_lo, s24
	s_delay_alu instid0(SALU_CYCLE_1)
	s_and_not1_b32 s38, s23, exec_lo
	s_and_b32 s37, s28, exec_lo
	s_and_b32 s36, s27, exec_lo
	;; [unrolled: 1-line block ×4, first 2 shown]
	s_and_not1_b32 s33, s20, exec_lo
	s_and_not1_b32 s31, s13, exec_lo
	;; [unrolled: 1-line block ×10, first 2 shown]
	s_and_b32 s40, s39, exec_lo
.LBB7_269:                              ;   in Loop: Header=BB7_15 Depth=1
	s_and_not1_saveexec_b32 s11, s11
	s_cbranch_execz .LBB7_271
; %bb.270:                              ;   in Loop: Header=BB7_15 Depth=1
	v_readlane_b32 s52, v59, 13
	v_readlane_b32 s58, v59, 19
	;; [unrolled: 1-line block ×3, first 2 shown]
	s_or_b32 s40, s40, exec_lo
	v_readlane_b32 s53, v59, 14
	v_readlane_b32 s54, v59, 15
	;; [unrolled: 1-line block ×3, first 2 shown]
	v_lshl_add_u64 v[0:1], v[104:105], 2, s[58:59]
	v_readlane_b32 s56, v59, 17
	v_readlane_b32 s57, v59, 18
	global_store_b32 v[0:1], v95, off
.LBB7_271:                              ;   in Loop: Header=BB7_15 Depth=1
	s_wait_xcnt 0x0
	s_or_b32 exec_lo, exec_lo, s11
	s_mov_b32 s11, -1
	s_mov_b32 s39, 0
	s_and_saveexec_b32 s41, s40
	s_cbranch_execz .LBB7_2
; %bb.272:                              ;   in Loop: Header=BB7_15 Depth=1
	v_readlane_b32 s11, v59, 30
	s_mov_b32 s39, exec_lo
	s_and_not1_b32 s38, s38, exec_lo
	s_and_not1_b32 s37, s37, exec_lo
	;; [unrolled: 1-line block ×3, first 2 shown]
	v_add_nc_u32_e32 v104, s11, v104
	v_readlane_b32 s11, v59, 31
	s_and_not1_b32 s35, s35, exec_lo
	s_and_not1_b32 s34, s34, exec_lo
	;; [unrolled: 1-line block ×4, first 2 shown]
	v_cmp_le_i32_e32 vcc_lo, s11, v104
	s_and_not1_b32 s30, s30, exec_lo
	s_and_not1_b32 s29, s29, exec_lo
	;; [unrolled: 1-line block ×8, first 2 shown]
	s_or_not1_b32 s11, vcc_lo, exec_lo
	s_branch .LBB7_2
.LBB7_273:
	s_or_b32 exec_lo, exec_lo, s102
	s_mov_b32 s1, -1
	s_xor_b32 s0, s103, -1
	s_mov_b32 s2, 0
	s_mov_b32 s3, 0
	;; [unrolled: 1-line block ×28, first 2 shown]
	s_and_saveexec_b32 s17, s101
	v_readlane_b32 s48, v59, 0
	s_cbranch_execz .LBB7_333
; %bb.274:
	s_mov_b32 s3, -1
	s_mov_b32 s8, 0
	s_mov_b32 s19, 0
	;; [unrolled: 1-line block ×5, first 2 shown]
	s_and_saveexec_b32 s18, s100
	s_cbranch_execz .LBB7_332
; %bb.275:
	s_mov_b32 s2, -1
	s_mov_b32 s1, 0
	s_and_saveexec_b32 s19, s99
	s_cbranch_execz .LBB7_331
; %bb.276:
	s_and_saveexec_b32 s20, s98
	s_cbranch_execz .LBB7_330
; %bb.277:
	;; [unrolled: 3-line block ×10, first 2 shown]
	s_mov_b32 s29, exec_lo
	v_readlane_b32 s3, v58, 24
	s_and_b32 s3, s29, s3
	s_delay_alu instid0(SALU_CYCLE_1)
	s_mov_b32 exec_lo, s3
	s_cbranch_execz .LBB7_321
; %bb.286:
	s_mov_b32 s3, -1
	s_mov_b32 s34, exec_lo
	v_readlane_b32 s2, v58, 23
	s_and_b32 s2, s34, s2
	s_delay_alu instid0(SALU_CYCLE_1)
	s_mov_b32 exec_lo, s2
	s_cbranch_execz .LBB7_320
; %bb.287:
	s_mov_b32 s2, -1
	;; [unrolled: 8-line block ×8, first 2 shown]
	s_mov_b32 s41, exec_lo
	v_readlane_b32 s3, v58, 16
	s_and_b32 s3, s41, s3
	s_delay_alu instid0(SALU_CYCLE_1)
	s_mov_b32 exec_lo, s3
	s_cbranch_execz .LBB7_313
; %bb.294:
	s_mov_b32 s31, s42
	s_mov_b32 s3, -1
	s_mov_b32 s42, exec_lo
	v_readlane_b32 s2, v58, 15
	s_and_b32 s2, s42, s2
	s_delay_alu instid0(SALU_CYCLE_1)
	s_mov_b32 exec_lo, s2
	s_cbranch_execz .LBB7_312
; %bb.295:
	s_mov_b32 s2, -1
	s_mov_b32 s43, exec_lo
	v_readlane_b32 s3, v58, 14
	s_and_b32 s3, s43, s3
	s_delay_alu instid0(SALU_CYCLE_1)
	s_mov_b32 exec_lo, s3
	s_cbranch_execz .LBB7_311
; %bb.296:
	;; [unrolled: 8-line block ×5, first 2 shown]
	s_mov_b32 s2, -1
	s_mov_b32 s3, 0
	s_mov_b32 s47, exec_lo
	v_readlane_b32 s4, v58, 10
	s_and_b32 s4, s47, s4
	s_delay_alu instid0(SALU_CYCLE_1)
	s_mov_b32 exec_lo, s4
	s_cbranch_execz .LBB7_307
; %bb.300:
	s_mov_b32 s1, -1
	s_mov_b32 s2, 0
	s_and_saveexec_b32 s3, s31
	s_delay_alu instid0(SALU_CYCLE_1)
	s_xor_b32 s48, exec_lo, s3
	s_cbranch_execz .LBB7_306
; %bb.301:
	s_and_saveexec_b32 s1, s0
	s_delay_alu instid0(SALU_CYCLE_1)
	s_xor_b32 s49, exec_lo, s1
	s_cbranch_execz .LBB7_303
; %bb.302:
	s_get_pc_i64 s[0:1]
	s_add_nc_u64 s[0:1], s[0:1], .str.15@rel64+4
	s_get_pc_i64 s[2:3]
	s_add_nc_u64 s[2:3], s[2:3], .str.16@rel64+4
	s_get_pc_i64 s[4:5]
	s_add_nc_u64 s[4:5], s[4:5], __PRETTY_FUNCTION__._ZN3sop10minatoIsopEPKjiP7VecsMemIjLi8192EE@rel64+4
	v_dual_mov_b32 v0, s0 :: v_dual_mov_b32 v1, s1
	v_dual_mov_b32 v2, s2 :: v_dual_mov_b32 v3, s3
	;; [unrolled: 1-line block ×3, first 2 shown]
	s_wait_loadcnt 0x0
	v_mov_b32_e32 v6, s5
	s_get_pc_i64 s[6:7]
	s_add_nc_u64 s[6:7], s[6:7], __assert_fail@rel64+4
	s_mov_b64 s[8:9], s[50:51]
	s_swap_pc_i64 s[30:31], s[6:7]
.LBB7_303:
	s_and_not1_saveexec_b32 s49, s49
	s_cbranch_execz .LBB7_305
; %bb.304:
	s_get_pc_i64 s[0:1]
	s_add_nc_u64 s[0:1], s[0:1], .str.15@rel64+4
	s_get_pc_i64 s[2:3]
	s_add_nc_u64 s[2:3], s[2:3], .str.16@rel64+4
	s_get_pc_i64 s[4:5]
	s_add_nc_u64 s[4:5], s[4:5], __PRETTY_FUNCTION__._ZN3sop10minatoIsopEPKjiP7VecsMemIjLi8192EE@rel64+4
	v_dual_mov_b32 v0, s0 :: v_dual_mov_b32 v1, s1
	v_dual_mov_b32 v2, s2 :: v_dual_mov_b32 v3, s3
	;; [unrolled: 1-line block ×3, first 2 shown]
	s_wait_loadcnt 0x0
	v_mov_b32_e32 v6, s5
	s_get_pc_i64 s[6:7]
	s_add_nc_u64 s[6:7], s[6:7], __assert_fail@rel64+4
	s_mov_b64 s[8:9], s[50:51]
	s_swap_pc_i64 s[30:31], s[6:7]
.LBB7_305:
	s_or_b32 exec_lo, exec_lo, s49
	s_delay_alu instid0(SALU_CYCLE_1)
	s_mov_b32 s2, exec_lo
	s_xor_b32 s1, exec_lo, -1
.LBB7_306:
	s_or_b32 exec_lo, exec_lo, s48
	s_delay_alu instid0(SALU_CYCLE_1)
	s_and_b32 s3, s2, exec_lo
	s_xor_b32 s2, exec_lo, -1
	s_and_b32 s1, s1, exec_lo
.LBB7_307:
	s_or_b32 exec_lo, exec_lo, s47
	s_delay_alu instid0(SALU_CYCLE_1)
	s_and_b32 s4, s3, exec_lo
	s_xor_b32 s3, exec_lo, -1
	s_and_b32 s6, s2, exec_lo
	s_and_b32 s1, s1, exec_lo
.LBB7_308:
	s_or_b32 exec_lo, exec_lo, s46
	s_delay_alu instid0(SALU_CYCLE_1)
	s_and_b32 s5, s4, exec_lo
	s_xor_b32 s2, exec_lo, -1
	s_and_b32 s4, s3, exec_lo
	s_and_b32 s6, s6, exec_lo
	;; [unrolled: 1-line block ×3, first 2 shown]
.LBB7_309:
	s_or_b32 exec_lo, exec_lo, s45
	s_delay_alu instid0(SALU_CYCLE_1)
	s_and_b32 s8, s5, exec_lo
	s_xor_b32 s3, exec_lo, -1
	s_and_b32 s5, s2, exec_lo
	s_and_b32 s4, s4, exec_lo
	;; [unrolled: 1-line block ×4, first 2 shown]
.LBB7_310:
	s_or_b32 exec_lo, exec_lo, s44
	s_delay_alu instid0(SALU_CYCLE_1)
	s_and_b32 s9, s8, exec_lo
	s_xor_b32 s2, exec_lo, -1
	s_and_b32 s6, s3, exec_lo
	s_and_b32 s5, s5, exec_lo
	;; [unrolled: 1-line block ×5, first 2 shown]
.LBB7_311:
	s_or_b32 exec_lo, exec_lo, s43
	s_delay_alu instid0(SALU_CYCLE_1)
	s_and_b32 s9, s9, exec_lo
	s_xor_b32 s3, exec_lo, -1
	s_and_b32 s7, s2, exec_lo
	s_and_b32 s6, s6, exec_lo
	;; [unrolled: 1-line block ×6, first 2 shown]
.LBB7_312:
	s_or_b32 exec_lo, exec_lo, s42
	s_delay_alu instid0(SALU_CYCLE_1)
	s_and_b32 s10, s9, exec_lo
	s_xor_b32 s2, exec_lo, -1
	s_and_b32 s9, s3, exec_lo
	s_and_b32 s7, s7, exec_lo
	;; [unrolled: 1-line block ×7, first 2 shown]
.LBB7_313:
	s_or_b32 exec_lo, exec_lo, s41
	s_delay_alu instid0(SALU_CYCLE_1)
	s_and_b32 s11, s10, exec_lo
	s_xor_b32 s3, exec_lo, -1
	s_and_b32 s10, s2, exec_lo
	s_and_b32 s9, s9, exec_lo
	s_and_b32 s7, s7, exec_lo
	s_and_b32 s6, s6, exec_lo
	s_and_b32 s5, s5, exec_lo
	s_and_b32 s4, s4, exec_lo
	s_and_b32 s8, s8, exec_lo
	s_and_b32 s1, s1, exec_lo
.LBB7_314:
	s_or_b32 exec_lo, exec_lo, s40
	s_delay_alu instid0(SALU_CYCLE_1)
	s_and_b32 s12, s11, exec_lo
	s_xor_b32 s2, exec_lo, -1
	s_and_b32 s11, s3, exec_lo
	s_and_b32 s10, s10, exec_lo
	s_and_b32 s9, s9, exec_lo
	s_and_b32 s7, s7, exec_lo
	s_and_b32 s6, s6, exec_lo
	s_and_b32 s5, s5, exec_lo
	s_and_b32 s4, s4, exec_lo
	s_and_b32 s8, s8, exec_lo
	s_and_b32 s1, s1, exec_lo
.LBB7_315:
	s_or_b32 exec_lo, exec_lo, s39
	s_delay_alu instid0(SALU_CYCLE_1)
	s_and_b32 s13, s12, exec_lo
	s_xor_b32 s3, exec_lo, -1
	s_and_b32 s12, s2, exec_lo
	s_and_b32 s11, s11, exec_lo
	;; [unrolled: 1-line block ×10, first 2 shown]
.LBB7_316:
	s_or_b32 exec_lo, exec_lo, s38
	s_delay_alu instid0(SALU_CYCLE_1)
	s_and_b32 s14, s13, exec_lo
	s_xor_b32 s2, exec_lo, -1
	s_and_b32 s13, s3, exec_lo
	s_and_b32 s12, s12, exec_lo
	;; [unrolled: 1-line block ×11, first 2 shown]
.LBB7_317:
	s_or_b32 exec_lo, exec_lo, s37
	s_delay_alu instid0(SALU_CYCLE_1)
	s_and_b32 s15, s14, exec_lo
	s_xor_b32 s3, exec_lo, -1
	s_and_b32 s14, s2, exec_lo
	s_and_b32 s13, s13, exec_lo
	;; [unrolled: 1-line block ×12, first 2 shown]
.LBB7_318:
	s_or_b32 exec_lo, exec_lo, s36
	s_delay_alu instid0(SALU_CYCLE_1)
	s_and_b32 s16, s15, exec_lo
	s_xor_b32 s2, exec_lo, -1
	s_and_b32 s15, s3, exec_lo
	s_and_b32 s14, s14, exec_lo
	;; [unrolled: 1-line block ×13, first 2 shown]
.LBB7_319:
	s_or_b32 exec_lo, exec_lo, s35
	s_delay_alu instid0(SALU_CYCLE_1)
	s_and_b32 s30, s16, exec_lo
	s_xor_b32 s3, exec_lo, -1
	s_and_b32 s16, s2, exec_lo
	s_and_b32 s15, s15, exec_lo
	;; [unrolled: 1-line block ×14, first 2 shown]
.LBB7_320:
	s_or_b32 exec_lo, exec_lo, s34
	v_readlane_b32 s48, v59, 0
	s_and_b32 s30, s30, exec_lo
	s_xor_b32 s2, exec_lo, -1
	s_and_b32 s33, s3, exec_lo
	s_and_b32 s16, s16, exec_lo
	;; [unrolled: 1-line block ×15, first 2 shown]
.LBB7_321:
	s_or_b32 exec_lo, exec_lo, s29
	s_delay_alu instid0(SALU_CYCLE_1)
	s_and_b32 s31, s30, exec_lo
	s_xor_b32 s3, exec_lo, -1
	s_and_b32 s30, s2, exec_lo
	s_and_b32 s29, s33, exec_lo
	;; [unrolled: 1-line block ×16, first 2 shown]
.LBB7_322:
	s_or_b32 exec_lo, exec_lo, s28
	s_delay_alu instid0(SALU_CYCLE_1)
	s_and_b32 s33, s31, exec_lo
	s_xor_b32 s2, exec_lo, -1
	s_and_b32 s28, s3, exec_lo
	s_and_b32 s30, s30, exec_lo
	;; [unrolled: 1-line block ×17, first 2 shown]
.LBB7_323:
	s_or_b32 exec_lo, exec_lo, s27
	s_delay_alu instid0(SALU_CYCLE_1)
	s_and_b32 s27, s33, exec_lo
	s_xor_b32 s3, exec_lo, -1
	s_and_b32 s29, s2, exec_lo
	s_and_b32 s28, s28, exec_lo
	;; [unrolled: 1-line block ×18, first 2 shown]
.LBB7_324:
	s_or_b32 exec_lo, exec_lo, s26
	s_delay_alu instid0(SALU_CYCLE_1)
	s_and_b32 s26, s27, exec_lo
	s_xor_b32 s2, exec_lo, -1
	s_and_b32 s27, s3, exec_lo
	s_and_b32 s29, s29, exec_lo
	;; [unrolled: 1-line block ×19, first 2 shown]
.LBB7_325:
	s_or_b32 exec_lo, exec_lo, s25
	s_delay_alu instid0(SALU_CYCLE_1)
	s_and_b32 s33, s26, exec_lo
	s_xor_b32 s3, exec_lo, -1
	s_and_b32 s26, s2, exec_lo
	s_and_b32 s27, s27, exec_lo
	;; [unrolled: 1-line block ×20, first 2 shown]
.LBB7_326:
	s_or_b32 exec_lo, exec_lo, s24
	s_delay_alu instid0(SALU_CYCLE_1)
	s_and_b32 s31, s33, exec_lo
	s_xor_b32 s2, exec_lo, -1
	s_and_b32 s33, s3, exec_lo
	s_and_b32 s26, s26, exec_lo
	;; [unrolled: 1-line block ×21, first 2 shown]
.LBB7_327:
	s_or_b32 exec_lo, exec_lo, s23
	s_delay_alu instid0(SALU_CYCLE_1)
	s_and_b32 s31, s31, exec_lo
	s_xor_b32 s3, exec_lo, -1
	s_and_b32 s30, s2, exec_lo
	s_and_b32 s33, s33, exec_lo
	;; [unrolled: 1-line block ×22, first 2 shown]
.LBB7_328:
	s_or_b32 exec_lo, exec_lo, s22
	s_delay_alu instid0(SALU_CYCLE_1)
	s_and_b32 s34, s31, exec_lo
	s_xor_b32 s2, exec_lo, -1
	s_and_b32 s31, s3, exec_lo
	s_and_b32 s30, s30, exec_lo
	;; [unrolled: 1-line block ×23, first 2 shown]
.LBB7_329:
	s_or_b32 exec_lo, exec_lo, s21
	s_delay_alu instid0(SALU_CYCLE_1)
	s_and_b32 s34, s34, exec_lo
	s_xor_b32 s3, exec_lo, -1
	s_and_b32 s29, s2, exec_lo
	s_and_b32 s33, s31, exec_lo
	;; [unrolled: 1-line block ×24, first 2 shown]
.LBB7_330:
	s_or_b32 exec_lo, exec_lo, s20
	s_delay_alu instid0(SALU_CYCLE_1)
	s_and_b32 s34, s34, exec_lo
	s_xor_b32 s2, exec_lo, -1
	s_and_b32 s30, s3, exec_lo
	s_and_b32 s29, s29, exec_lo
	;; [unrolled: 1-line block ×25, first 2 shown]
.LBB7_331:
	s_or_b32 exec_lo, exec_lo, s19
	s_delay_alu instid0(SALU_CYCLE_1)
	s_and_b32 s34, s34, exec_lo
	s_xor_b32 s3, exec_lo, -1
	s_and_b32 s31, s2, exec_lo
	s_and_b32 s30, s30, exec_lo
	;; [unrolled: 1-line block ×26, first 2 shown]
.LBB7_332:
	s_or_b32 exec_lo, exec_lo, s18
	s_delay_alu instid0(SALU_CYCLE_1)
	s_and_b32 s18, s34, exec_lo
	s_xor_b32 s1, exec_lo, -1
	s_and_b32 s36, s3, exec_lo
	s_and_b32 s35, s31, exec_lo
	;; [unrolled: 1-line block ×27, first 2 shown]
.LBB7_333:
	s_or_b32 exec_lo, exec_lo, s17
	s_delay_alu instid0(SALU_CYCLE_1)
	s_and_b32 s17, s18, exec_lo
	s_and_b32 s18, s1, exec_lo
	;; [unrolled: 1-line block ×28, first 2 shown]
	s_or_not1_b32 s4, s2, exec_lo
.LBB7_334:
	s_or_b32 exec_lo, exec_lo, s48
	s_and_saveexec_b32 s0, s4
	s_delay_alu instid0(SALU_CYCLE_1) | instskip(SKIP_1) | instid1(SALU_CYCLE_1)
	s_or_b32 exec_lo, exec_lo, s0
	s_and_saveexec_b32 s0, s3
	s_xor_b32 s48, exec_lo, s0
	s_cbranch_execnz .LBB7_368
; %bb.335:
	s_or_b32 exec_lo, exec_lo, s48
	s_and_saveexec_b32 s0, s47
	s_delay_alu instid0(SALU_CYCLE_1)
	s_xor_b32 s47, exec_lo, s0
	s_cbranch_execnz .LBB7_369
.LBB7_336:
	s_or_b32 exec_lo, exec_lo, s47
	s_and_saveexec_b32 s0, s46
	s_delay_alu instid0(SALU_CYCLE_1)
	s_xor_b32 s46, exec_lo, s0
	s_cbranch_execnz .LBB7_370
.LBB7_337:
	s_or_b32 exec_lo, exec_lo, s46
	s_and_saveexec_b32 s0, s45
	s_delay_alu instid0(SALU_CYCLE_1)
	s_xor_b32 s45, exec_lo, s0
	s_cbranch_execnz .LBB7_371
.LBB7_338:
	s_or_b32 exec_lo, exec_lo, s45
	s_and_saveexec_b32 s0, s44
	s_delay_alu instid0(SALU_CYCLE_1)
	s_xor_b32 s44, exec_lo, s0
	s_cbranch_execnz .LBB7_372
.LBB7_339:
	s_or_b32 exec_lo, exec_lo, s44
	s_and_saveexec_b32 s0, s43
	s_delay_alu instid0(SALU_CYCLE_1)
	s_xor_b32 s43, exec_lo, s0
	s_cbranch_execnz .LBB7_373
.LBB7_340:
	s_or_b32 exec_lo, exec_lo, s43
	s_and_saveexec_b32 s0, s42
	s_delay_alu instid0(SALU_CYCLE_1)
	s_xor_b32 s42, exec_lo, s0
	s_cbranch_execnz .LBB7_374
.LBB7_341:
	s_or_b32 exec_lo, exec_lo, s42
	s_and_saveexec_b32 s42, s41
	s_cbranch_execnz .LBB7_375
.LBB7_342:
	s_or_b32 exec_lo, exec_lo, s42
	s_and_saveexec_b32 s0, s39
	s_delay_alu instid0(SALU_CYCLE_1)
	s_xor_b32 s39, exec_lo, s0
	s_cbranch_execnz .LBB7_376
.LBB7_343:
	s_or_b32 exec_lo, exec_lo, s39
	s_and_saveexec_b32 s39, s40
	s_cbranch_execnz .LBB7_377
.LBB7_344:
	s_or_b32 exec_lo, exec_lo, s39
	s_and_saveexec_b32 s0, s38
	s_delay_alu instid0(SALU_CYCLE_1)
	s_xor_b32 s38, exec_lo, s0
	s_cbranch_execnz .LBB7_721
.LBB7_345:
	s_or_b32 exec_lo, exec_lo, s38
	s_and_saveexec_b32 s0, s37
	s_delay_alu instid0(SALU_CYCLE_1)
	s_xor_b32 s37, exec_lo, s0
	s_cbranch_execnz .LBB7_722
.LBB7_346:
	s_or_b32 exec_lo, exec_lo, s37
	s_and_saveexec_b32 s0, s36
	s_delay_alu instid0(SALU_CYCLE_1)
	s_xor_b32 s36, exec_lo, s0
	s_cbranch_execz .LBB7_348
.LBB7_347:
	s_get_pc_i64 s[0:1]
	s_add_nc_u64 s[0:1], s[0:1], .str.17@rel64+4
	s_get_pc_i64 s[2:3]
	s_add_nc_u64 s[2:3], s[2:3], .str.16@rel64+4
	s_get_pc_i64 s[4:5]
	s_add_nc_u64 s[4:5], s[4:5], __PRETTY_FUNCTION__._ZN3sop10minatoIsopEPKjiP7VecsMemIjLi8192EE@rel64+4
	v_dual_mov_b32 v0, s0 :: v_dual_mov_b32 v1, s1
	v_dual_mov_b32 v2, s2 :: v_dual_mov_b32 v3, s3
	;; [unrolled: 1-line block ×3, first 2 shown]
	s_wait_loadcnt 0x0
	v_mov_b32_e32 v6, s5
	s_get_pc_i64 s[6:7]
	s_add_nc_u64 s[6:7], s[6:7], __assert_fail@rel64+4
	s_mov_b64 s[8:9], s[50:51]
	s_swap_pc_i64 s[30:31], s[6:7]
	s_or_b32 s17, s17, exec_lo
.LBB7_348:
	s_or_b32 exec_lo, exec_lo, s36
	s_and_saveexec_b32 s36, s35
	s_cbranch_execnz .LBB7_399
; %bb.349:
	s_or_b32 exec_lo, exec_lo, s36
	s_and_saveexec_b32 s0, s34
	s_delay_alu instid0(SALU_CYCLE_1)
	s_xor_b32 s34, exec_lo, s0
	s_cbranch_execnz .LBB7_752
.LBB7_350:
	s_or_b32 exec_lo, exec_lo, s34
	s_and_saveexec_b32 s0, s29
	s_delay_alu instid0(SALU_CYCLE_1)
	s_xor_b32 s29, exec_lo, s0
	s_cbranch_execz .LBB7_352
.LBB7_351:
	s_get_pc_i64 s[0:1]
	s_add_nc_u64 s[0:1], s[0:1], .str.2@rel64+4
	s_get_pc_i64 s[2:3]
	s_add_nc_u64 s[2:3], s[2:3], .str.1@rel64+4
	s_get_pc_i64 s[4:5]
	s_add_nc_u64 s[4:5], s[4:5], __PRETTY_FUNCTION__._Z12evaluateSubgiPiPKiiiiS1_PKyPKjiPKN8subgUtil4SubgILi256EEE@rel64+4
	v_dual_mov_b32 v0, s0 :: v_dual_mov_b32 v1, s1
	v_dual_mov_b32 v2, s2 :: v_dual_mov_b32 v3, s3
	;; [unrolled: 1-line block ×3, first 2 shown]
	s_wait_loadcnt 0x0
	v_mov_b32_e32 v6, s5
	s_get_pc_i64 s[6:7]
	s_add_nc_u64 s[6:7], s[6:7], __assert_fail@rel64+4
	s_mov_b64 s[8:9], s[50:51]
	s_swap_pc_i64 s[30:31], s[6:7]
	s_or_b32 s17, s17, exec_lo
.LBB7_352:
	s_or_b32 exec_lo, exec_lo, s29
	s_and_saveexec_b32 s0, s28
	s_delay_alu instid0(SALU_CYCLE_1)
	s_xor_b32 s28, exec_lo, s0
	s_cbranch_execz .LBB7_354
; %bb.353:
	s_get_pc_i64 s[0:1]
	s_add_nc_u64 s[0:1], s[0:1], .str@rel64+4
	s_get_pc_i64 s[2:3]
	s_add_nc_u64 s[2:3], s[2:3], .str.1@rel64+4
	s_get_pc_i64 s[4:5]
	s_add_nc_u64 s[4:5], s[4:5], __PRETTY_FUNCTION__._Z12evaluateSubgiPiPKiiiiS1_PKyPKjiPKN8subgUtil4SubgILi256EEE@rel64+4
	v_dual_mov_b32 v0, s0 :: v_dual_mov_b32 v1, s1
	v_dual_mov_b32 v2, s2 :: v_dual_mov_b32 v3, s3
	;; [unrolled: 1-line block ×3, first 2 shown]
	s_wait_loadcnt 0x0
	v_mov_b32_e32 v6, s5
	s_get_pc_i64 s[6:7]
	s_add_nc_u64 s[6:7], s[6:7], __assert_fail@rel64+4
	s_mov_b64 s[8:9], s[50:51]
	s_swap_pc_i64 s[30:31], s[6:7]
	s_or_b32 s17, s17, exec_lo
.LBB7_354:
	s_or_b32 exec_lo, exec_lo, s28
	s_and_saveexec_b32 s0, s27
	s_delay_alu instid0(SALU_CYCLE_1)
	s_xor_b32 s27, exec_lo, s0
	s_cbranch_execz .LBB7_356
; %bb.355:
	s_get_pc_i64 s[0:1]
	s_add_nc_u64 s[0:1], s[0:1], .str.46@rel64+4
	s_get_pc_i64 s[2:3]
	s_add_nc_u64 s[2:3], s[2:3], .str.44@rel64+4
	s_get_pc_i64 s[4:5]
	s_add_nc_u64 s[4:5], s[4:5], __PRETTY_FUNCTION__._ZN8subgUtil18formAndNodeKeyFlagEiii@rel64+4
	v_dual_mov_b32 v0, s0 :: v_dual_mov_b32 v1, s1
	v_dual_mov_b32 v2, s2 :: v_dual_mov_b32 v3, s3
	;; [unrolled: 1-line block ×3, first 2 shown]
	s_wait_loadcnt 0x0
	v_mov_b32_e32 v6, s5
	s_get_pc_i64 s[6:7]
	s_add_nc_u64 s[6:7], s[6:7], __assert_fail@rel64+4
	s_mov_b64 s[8:9], s[50:51]
	s_swap_pc_i64 s[30:31], s[6:7]
	s_or_b32 s17, s17, exec_lo
.LBB7_356:
	s_or_b32 exec_lo, exec_lo, s27
	s_and_saveexec_b32 s0, s26
	s_delay_alu instid0(SALU_CYCLE_1)
	s_xor_b32 s26, exec_lo, s0
	s_cbranch_execz .LBB7_358
; %bb.357:
	s_get_pc_i64 s[0:1]
	s_add_nc_u64 s[0:1], s[0:1], .str.32@rel64+4
	s_get_pc_i64 s[2:3]
	s_add_nc_u64 s[2:3], s[2:3], .str.31@rel64+4
	s_get_pc_i64 s[4:5]
	s_add_nc_u64 s[4:5], s[4:5], __PRETTY_FUNCTION__._ZN3sop9sopFactorEPjiiPKiiP7VecsMemIjLi8192EEPN8subgUtil4SubgILi256EEE@rel64+4
	v_dual_mov_b32 v0, s0 :: v_dual_mov_b32 v1, s1
	v_dual_mov_b32 v2, s2 :: v_dual_mov_b32 v3, s3
	;; [unrolled: 1-line block ×3, first 2 shown]
	s_wait_loadcnt 0x0
	v_mov_b32_e32 v6, s5
	s_get_pc_i64 s[6:7]
	s_add_nc_u64 s[6:7], s[6:7], __assert_fail@rel64+4
	s_mov_b64 s[8:9], s[50:51]
	s_swap_pc_i64 s[30:31], s[6:7]
	s_or_b32 s17, s17, exec_lo
.LBB7_358:
	s_or_b32 exec_lo, exec_lo, s26
	s_and_saveexec_b32 s26, s25
	s_cbranch_execnz .LBB7_421
; %bb.359:
	s_or_b32 exec_lo, exec_lo, s26
	s_and_saveexec_b32 s0, s24
	s_delay_alu instid0(SALU_CYCLE_1)
	s_xor_b32 s24, exec_lo, s0
	s_cbranch_execnz .LBB7_782
.LBB7_360:
	s_or_b32 exec_lo, exec_lo, s24
	s_and_saveexec_b32 s24, s23
	s_cbranch_execnz .LBB7_783
.LBB7_361:
	s_or_b32 exec_lo, exec_lo, s24
	s_and_saveexec_b32 s0, s22
	s_delay_alu instid0(SALU_CYCLE_1)
	s_xor_b32 s22, exec_lo, s0
	s_cbranch_execnz .LBB7_784
.LBB7_362:
	s_or_b32 exec_lo, exec_lo, s22
	s_and_saveexec_b32 s0, s21
	s_delay_alu instid0(SALU_CYCLE_1)
	s_xor_b32 s21, exec_lo, s0
	s_cbranch_execnz .LBB7_785
.LBB7_363:
	s_or_b32 exec_lo, exec_lo, s21
	s_and_saveexec_b32 s21, s20
	s_cbranch_execnz .LBB7_786
.LBB7_364:
	s_or_b32 exec_lo, exec_lo, s21
	s_and_saveexec_b32 s0, s19
	s_delay_alu instid0(SALU_CYCLE_1)
	s_xor_b32 s19, exec_lo, s0
	s_cbranch_execnz .LBB7_920
.LBB7_365:
	s_or_b32 exec_lo, exec_lo, s19
	s_and_saveexec_b32 s19, s18
	s_cbranch_execnz .LBB7_921
.LBB7_366:
	s_or_b32 exec_lo, exec_lo, s19
	s_and_saveexec_b32 s0, s17
	s_cbranch_execnz .LBB7_922
.LBB7_367:
	s_endpgm
.LBB7_368:
	s_get_pc_i64 s[0:1]
	s_add_nc_u64 s[0:1], s[0:1], .str.11@rel64+4
	s_get_pc_i64 s[2:3]
	s_add_nc_u64 s[2:3], s[2:3], .str.1@rel64+4
	s_get_pc_i64 s[4:5]
	s_add_nc_u64 s[4:5], s[4:5], __PRETTY_FUNCTION__._Z8resynCutPKiS0_S0_S0_PKyPKjiS0_PyPiS6_S6_PjS0_S4_ii@rel64+4
	v_dual_mov_b32 v0, s0 :: v_dual_mov_b32 v1, s1
	v_dual_mov_b32 v2, s2 :: v_dual_mov_b32 v3, s3
	;; [unrolled: 1-line block ×3, first 2 shown]
	s_wait_loadcnt 0x0
	v_mov_b32_e32 v6, s5
	s_get_pc_i64 s[6:7]
	s_add_nc_u64 s[6:7], s[6:7], __assert_fail@rel64+4
	s_mov_b64 s[8:9], s[50:51]
	s_swap_pc_i64 s[30:31], s[6:7]
	s_or_b32 s17, s17, exec_lo
	s_or_b32 exec_lo, exec_lo, s48
	s_and_saveexec_b32 s0, s47
	s_delay_alu instid0(SALU_CYCLE_1)
	s_xor_b32 s47, exec_lo, s0
	s_cbranch_execz .LBB7_336
.LBB7_369:
	s_get_pc_i64 s[0:1]
	s_add_nc_u64 s[0:1], s[0:1], .str.10@rel64+4
	s_get_pc_i64 s[2:3]
	s_add_nc_u64 s[2:3], s[2:3], .str.1@rel64+4
	s_get_pc_i64 s[4:5]
	s_add_nc_u64 s[4:5], s[4:5], __PRETTY_FUNCTION__._Z8resynCutPKiS0_S0_S0_PKyPKjiS0_PyPiS6_S6_PjS0_S4_ii@rel64+4
	v_dual_mov_b32 v0, s0 :: v_dual_mov_b32 v1, s1
	v_dual_mov_b32 v2, s2 :: v_dual_mov_b32 v3, s3
	;; [unrolled: 1-line block ×3, first 2 shown]
	s_wait_loadcnt 0x0
	v_mov_b32_e32 v6, s5
	s_get_pc_i64 s[6:7]
	s_add_nc_u64 s[6:7], s[6:7], __assert_fail@rel64+4
	s_mov_b64 s[8:9], s[50:51]
	s_swap_pc_i64 s[30:31], s[6:7]
	s_or_b32 s17, s17, exec_lo
	s_or_b32 exec_lo, exec_lo, s47
	s_and_saveexec_b32 s0, s46
	s_delay_alu instid0(SALU_CYCLE_1)
	s_xor_b32 s46, exec_lo, s0
	s_cbranch_execz .LBB7_337
.LBB7_370:
	s_get_pc_i64 s[0:1]
	s_add_nc_u64 s[0:1], s[0:1], .str.9@rel64+4
	s_get_pc_i64 s[2:3]
	s_add_nc_u64 s[2:3], s[2:3], .str.1@rel64+4
	s_get_pc_i64 s[4:5]
	s_add_nc_u64 s[4:5], s[4:5], __PRETTY_FUNCTION__._Z8resynCutPKiS0_S0_S0_PKyPKjiS0_PyPiS6_S6_PjS0_S4_ii@rel64+4
	v_dual_mov_b32 v0, s0 :: v_dual_mov_b32 v1, s1
	v_dual_mov_b32 v2, s2 :: v_dual_mov_b32 v3, s3
	;; [unrolled: 1-line block ×3, first 2 shown]
	s_wait_loadcnt 0x0
	v_mov_b32_e32 v6, s5
	s_get_pc_i64 s[6:7]
	s_add_nc_u64 s[6:7], s[6:7], __assert_fail@rel64+4
	s_mov_b64 s[8:9], s[50:51]
	s_swap_pc_i64 s[30:31], s[6:7]
	s_or_b32 s17, s17, exec_lo
	s_or_b32 exec_lo, exec_lo, s46
	s_and_saveexec_b32 s0, s45
	s_delay_alu instid0(SALU_CYCLE_1)
	s_xor_b32 s45, exec_lo, s0
	s_cbranch_execz .LBB7_338
.LBB7_371:
	s_get_pc_i64 s[0:1]
	s_add_nc_u64 s[0:1], s[0:1], .str.8@rel64+4
	s_get_pc_i64 s[2:3]
	s_add_nc_u64 s[2:3], s[2:3], .str.1@rel64+4
	s_get_pc_i64 s[4:5]
	s_add_nc_u64 s[4:5], s[4:5], __PRETTY_FUNCTION__._Z8resynCutPKiS0_S0_S0_PKyPKjiS0_PyPiS6_S6_PjS0_S4_ii@rel64+4
	v_dual_mov_b32 v0, s0 :: v_dual_mov_b32 v1, s1
	v_dual_mov_b32 v2, s2 :: v_dual_mov_b32 v3, s3
	;; [unrolled: 1-line block ×3, first 2 shown]
	s_wait_loadcnt 0x0
	v_mov_b32_e32 v6, s5
	s_get_pc_i64 s[6:7]
	s_add_nc_u64 s[6:7], s[6:7], __assert_fail@rel64+4
	s_mov_b64 s[8:9], s[50:51]
	s_swap_pc_i64 s[30:31], s[6:7]
	s_or_b32 s17, s17, exec_lo
	s_or_b32 exec_lo, exec_lo, s45
	s_and_saveexec_b32 s0, s44
	s_delay_alu instid0(SALU_CYCLE_1)
	s_xor_b32 s44, exec_lo, s0
	s_cbranch_execz .LBB7_339
.LBB7_372:
	s_get_pc_i64 s[0:1]
	s_add_nc_u64 s[0:1], s[0:1], .str.2@rel64+4
	s_get_pc_i64 s[2:3]
	s_add_nc_u64 s[2:3], s[2:3], .str.1@rel64+4
	s_get_pc_i64 s[4:5]
	s_add_nc_u64 s[4:5], s[4:5], __PRETTY_FUNCTION__._Z12evaluateSubgiPiPKiiiiS1_PKyPKjiPKN8subgUtil4SubgILi256EEE@rel64+4
	v_dual_mov_b32 v0, s0 :: v_dual_mov_b32 v1, s1
	v_dual_mov_b32 v2, s2 :: v_dual_mov_b32 v3, s3
	;; [unrolled: 1-line block ×3, first 2 shown]
	s_wait_loadcnt 0x0
	v_mov_b32_e32 v6, s5
	s_get_pc_i64 s[6:7]
	s_add_nc_u64 s[6:7], s[6:7], __assert_fail@rel64+4
	s_mov_b64 s[8:9], s[50:51]
	s_swap_pc_i64 s[30:31], s[6:7]
	s_or_b32 s17, s17, exec_lo
	s_or_b32 exec_lo, exec_lo, s44
	s_and_saveexec_b32 s0, s43
	s_delay_alu instid0(SALU_CYCLE_1)
	s_xor_b32 s43, exec_lo, s0
	s_cbranch_execz .LBB7_340
.LBB7_373:
	s_get_pc_i64 s[0:1]
	s_add_nc_u64 s[0:1], s[0:1], .str@rel64+4
	s_get_pc_i64 s[2:3]
	s_add_nc_u64 s[2:3], s[2:3], .str.1@rel64+4
	s_get_pc_i64 s[4:5]
	s_add_nc_u64 s[4:5], s[4:5], __PRETTY_FUNCTION__._Z12evaluateSubgiPiPKiiiiS1_PKyPKjiPKN8subgUtil4SubgILi256EEE@rel64+4
	v_dual_mov_b32 v0, s0 :: v_dual_mov_b32 v1, s1
	v_dual_mov_b32 v2, s2 :: v_dual_mov_b32 v3, s3
	;; [unrolled: 1-line block ×3, first 2 shown]
	s_wait_loadcnt 0x0
	v_mov_b32_e32 v6, s5
	s_get_pc_i64 s[6:7]
	s_add_nc_u64 s[6:7], s[6:7], __assert_fail@rel64+4
	s_mov_b64 s[8:9], s[50:51]
	s_swap_pc_i64 s[30:31], s[6:7]
	s_or_b32 s17, s17, exec_lo
	s_or_b32 exec_lo, exec_lo, s43
	s_and_saveexec_b32 s0, s42
	s_delay_alu instid0(SALU_CYCLE_1)
	s_xor_b32 s42, exec_lo, s0
	s_cbranch_execz .LBB7_341
.LBB7_374:
	s_get_pc_i64 s[0:1]
	s_add_nc_u64 s[0:1], s[0:1], .str.46@rel64+4
	s_get_pc_i64 s[2:3]
	s_add_nc_u64 s[2:3], s[2:3], .str.44@rel64+4
	s_get_pc_i64 s[4:5]
	s_add_nc_u64 s[4:5], s[4:5], __PRETTY_FUNCTION__._ZN8subgUtil18formAndNodeKeyFlagEiii@rel64+4
	v_dual_mov_b32 v0, s0 :: v_dual_mov_b32 v1, s1
	v_dual_mov_b32 v2, s2 :: v_dual_mov_b32 v3, s3
	v_dual_mov_b32 v4, 35 :: v_dual_mov_b32 v5, s4
	s_wait_loadcnt 0x0
	v_mov_b32_e32 v6, s5
	s_get_pc_i64 s[6:7]
	s_add_nc_u64 s[6:7], s[6:7], __assert_fail@rel64+4
	s_mov_b64 s[8:9], s[50:51]
	s_swap_pc_i64 s[30:31], s[6:7]
	s_or_b32 s17, s17, exec_lo
	s_or_b32 exec_lo, exec_lo, s42
	s_and_saveexec_b32 s42, s41
	s_cbranch_execz .LBB7_342
.LBB7_375:
	s_get_pc_i64 s[0:1]
	s_add_nc_u64 s[0:1], s[0:1], .str.32@rel64+4
	s_get_pc_i64 s[2:3]
	s_add_nc_u64 s[2:3], s[2:3], .str.31@rel64+4
	s_get_pc_i64 s[4:5]
	s_add_nc_u64 s[4:5], s[4:5], __PRETTY_FUNCTION__._ZN3sop9sopFactorEPjiiPKiiP7VecsMemIjLi8192EEPN8subgUtil4SubgILi256EEE@rel64+4
	v_dual_mov_b32 v0, s0 :: v_dual_mov_b32 v1, s1
	v_dual_mov_b32 v2, s2 :: v_dual_mov_b32 v3, s3
	;; [unrolled: 1-line block ×3, first 2 shown]
	s_wait_loadcnt 0x0
	v_mov_b32_e32 v6, s5
	s_get_pc_i64 s[6:7]
	s_add_nc_u64 s[6:7], s[6:7], __assert_fail@rel64+4
	s_mov_b64 s[8:9], s[50:51]
	s_swap_pc_i64 s[30:31], s[6:7]
	s_or_b32 s17, s17, exec_lo
	s_or_b32 exec_lo, exec_lo, s42
	s_and_saveexec_b32 s0, s39
	s_delay_alu instid0(SALU_CYCLE_1)
	s_xor_b32 s39, exec_lo, s0
	s_cbranch_execz .LBB7_343
.LBB7_376:
	s_get_pc_i64 s[0:1]
	s_add_nc_u64 s[0:1], s[0:1], .str.46@rel64+4
	s_get_pc_i64 s[2:3]
	s_add_nc_u64 s[2:3], s[2:3], .str.44@rel64+4
	s_get_pc_i64 s[4:5]
	s_add_nc_u64 s[4:5], s[4:5], __PRETTY_FUNCTION__._ZN8subgUtil18formAndNodeKeyFlagEiii@rel64+4
	v_dual_mov_b32 v0, s0 :: v_dual_mov_b32 v1, s1
	v_dual_mov_b32 v2, s2 :: v_dual_mov_b32 v3, s3
	;; [unrolled: 1-line block ×3, first 2 shown]
	s_wait_loadcnt 0x0
	v_mov_b32_e32 v6, s5
	s_get_pc_i64 s[6:7]
	s_add_nc_u64 s[6:7], s[6:7], __assert_fail@rel64+4
	s_mov_b64 s[8:9], s[50:51]
	s_swap_pc_i64 s[30:31], s[6:7]
	s_or_b32 s17, s17, exec_lo
	s_or_b32 exec_lo, exec_lo, s39
	s_and_saveexec_b32 s39, s40
	s_cbranch_execz .LBB7_344
.LBB7_377:
	s_load_b64 s[2:3], s[50:51], 0x50
	v_mbcnt_lo_u32_b32 v32, -1, 0
	v_mov_b64_e32 v[2:3], 0
	s_delay_alu instid0(VALU_DEP_2) | instskip(NEXT) | instid1(VALU_DEP_1)
	v_readfirstlane_b32 s0, v32
	v_cmp_eq_u32_e64 s0, s0, v32
	s_and_saveexec_b32 s1, s0
	s_cbranch_execz .LBB7_383
; %bb.378:
	v_mov_b32_e32 v0, 0
	s_mov_b32 s4, exec_lo
	s_wait_kmcnt 0x0
	global_load_b64 v[4:5], v0, s[2:3] offset:24 scope:SCOPE_SYS
	s_wait_loadcnt 0x0
	global_inv scope:SCOPE_SYS
	s_clause 0x1
	global_load_b64 v[2:3], v0, s[2:3] offset:40
	global_load_b64 v[6:7], v0, s[2:3]
	s_wait_loadcnt 0x1
	v_and_b32_e32 v2, v2, v4
	v_and_b32_e32 v3, v3, v5
	s_delay_alu instid0(VALU_DEP_1) | instskip(SKIP_1) | instid1(VALU_DEP_1)
	v_mul_u64_e32 v[2:3], 24, v[2:3]
	s_wait_loadcnt 0x0
	v_add_nc_u64_e32 v[2:3], v[6:7], v[2:3]
	global_load_b64 v[2:3], v[2:3], off scope:SCOPE_SYS
	s_wait_xcnt 0x0
	s_wait_loadcnt 0x0
	global_atomic_cmpswap_b64 v[2:3], v0, v[2:5], s[2:3] offset:24 th:TH_ATOMIC_RETURN scope:SCOPE_SYS
	s_wait_loadcnt 0x0
	global_inv scope:SCOPE_SYS
	s_wait_xcnt 0x0
	v_cmpx_ne_u64_e64 v[2:3], v[4:5]
	s_cbranch_execz .LBB7_382
; %bb.379:
	s_mov_b32 s5, 0
.LBB7_380:                              ; =>This Inner Loop Header: Depth=1
	s_sleep 1
	s_clause 0x1
	global_load_b64 v[6:7], v0, s[2:3] offset:40
	global_load_b64 v[8:9], v0, s[2:3]
	v_mov_b64_e32 v[4:5], v[2:3]
	s_wait_loadcnt 0x1
	s_delay_alu instid0(VALU_DEP_1) | instskip(SKIP_1) | instid1(VALU_DEP_1)
	v_and_b32_e32 v1, v6, v4
	s_wait_loadcnt 0x0
	v_mad_nc_u64_u32 v[2:3], v1, 24, v[8:9]
	s_delay_alu instid0(VALU_DEP_3) | instskip(NEXT) | instid1(VALU_DEP_1)
	v_and_b32_e32 v1, v7, v5
	v_mad_u32 v3, v1, 24, v3
	global_load_b64 v[2:3], v[2:3], off scope:SCOPE_SYS
	s_wait_xcnt 0x0
	s_wait_loadcnt 0x0
	global_atomic_cmpswap_b64 v[2:3], v0, v[2:5], s[2:3] offset:24 th:TH_ATOMIC_RETURN scope:SCOPE_SYS
	s_wait_loadcnt 0x0
	global_inv scope:SCOPE_SYS
	v_cmp_eq_u64_e32 vcc_lo, v[2:3], v[4:5]
	s_or_b32 s5, vcc_lo, s5
	s_wait_xcnt 0x0
	s_and_not1_b32 exec_lo, exec_lo, s5
	s_cbranch_execnz .LBB7_380
; %bb.381:
	s_or_b32 exec_lo, exec_lo, s5
.LBB7_382:
	s_delay_alu instid0(SALU_CYCLE_1)
	s_or_b32 exec_lo, exec_lo, s4
.LBB7_383:
	s_delay_alu instid0(SALU_CYCLE_1)
	s_or_b32 exec_lo, exec_lo, s1
	v_readfirstlane_b32 s4, v2
	v_mov_b32_e32 v1, 0
	v_readfirstlane_b32 s5, v3
	s_mov_b32 s1, exec_lo
	s_wait_kmcnt 0x0
	global_load_b64 v[8:9], v1, s[2:3] offset:40
	s_wait_loadcnt 0x1
	global_load_b128 v[4:7], v1, s[2:3]
	s_wait_loadcnt 0x1
	v_and_b32_e32 v10, s4, v8
	v_and_b32_e32 v11, s5, v9
	s_delay_alu instid0(VALU_DEP_1) | instskip(SKIP_1) | instid1(VALU_DEP_1)
	v_mul_u64_e32 v[2:3], 24, v[10:11]
	s_wait_loadcnt 0x0
	v_add_nc_u64_e32 v[8:9], v[4:5], v[2:3]
	s_wait_xcnt 0x0
	s_and_saveexec_b32 s6, s0
	s_cbranch_execz .LBB7_385
; %bb.384:
	v_mov_b64_e32 v[2:3], 0x100000002
	v_mov_b32_e32 v0, s1
	global_store_b128 v[8:9], v[0:3], off offset:8
.LBB7_385:
	s_wait_xcnt 0x0
	s_or_b32 exec_lo, exec_lo, s6
	v_lshlrev_b64_e32 v[2:3], 12, v[10:11]
	s_mov_b32 s8, 0
	v_dual_lshlrev_b32 v0, 6, v32 :: v_dual_mov_b32 v10, 33
	s_mov_b32 s10, s8
	s_mov_b32 s11, s8
	s_mov_b32 s9, s8
	s_delay_alu instid0(VALU_DEP_2)
	v_add_nc_u64_e32 v[6:7], v[6:7], v[2:3]
	v_mov_b64_e32 v[16:17], s[10:11]
	v_mov_b64_e32 v[14:15], s[8:9]
	v_dual_mov_b32 v11, v1 :: v_dual_mov_b32 v12, v1
	v_mov_b32_e32 v13, v1
	v_readfirstlane_b32 s6, v6
	v_readfirstlane_b32 s7, v7
	s_clause 0x3
	global_store_b128 v0, v[10:13], s[6:7]
	global_store_b128 v0, v[14:17], s[6:7] offset:16
	global_store_b128 v0, v[14:17], s[6:7] offset:32
	;; [unrolled: 1-line block ×3, first 2 shown]
	s_wait_xcnt 0x0
	s_and_saveexec_b32 s1, s0
	s_cbranch_execz .LBB7_393
; %bb.386:
	v_dual_mov_b32 v12, 0 :: v_dual_mov_b32 v15, s5
	s_mov_b32 s6, exec_lo
	s_clause 0x1
	global_load_b64 v[16:17], v12, s[2:3] offset:32 scope:SCOPE_SYS
	global_load_b64 v[2:3], v12, s[2:3] offset:40
	s_wait_loadcnt 0x0
	v_dual_mov_b32 v14, s4 :: v_dual_bitop2_b32 v3, s5, v3 bitop3:0x40
	v_and_b32_e32 v2, s4, v2
	s_delay_alu instid0(VALU_DEP_1) | instskip(NEXT) | instid1(VALU_DEP_1)
	v_mul_u64_e32 v[2:3], 24, v[2:3]
	v_add_nc_u64_e32 v[10:11], v[4:5], v[2:3]
	global_store_b64 v[10:11], v[16:17], off
	global_wb scope:SCOPE_SYS
	s_wait_storecnt 0x0
	s_wait_xcnt 0x0
	global_atomic_cmpswap_b64 v[4:5], v12, v[14:17], s[2:3] offset:32 th:TH_ATOMIC_RETURN scope:SCOPE_SYS
	s_wait_loadcnt 0x0
	v_cmpx_ne_u64_e64 v[4:5], v[16:17]
	s_cbranch_execz .LBB7_389
; %bb.387:
	s_mov_b32 s7, 0
.LBB7_388:                              ; =>This Inner Loop Header: Depth=1
	v_dual_mov_b32 v2, s4 :: v_dual_mov_b32 v3, s5
	s_sleep 1
	global_store_b64 v[10:11], v[4:5], off
	global_wb scope:SCOPE_SYS
	s_wait_storecnt 0x0
	s_wait_xcnt 0x0
	global_atomic_cmpswap_b64 v[2:3], v12, v[2:5], s[2:3] offset:32 th:TH_ATOMIC_RETURN scope:SCOPE_SYS
	s_wait_loadcnt 0x0
	v_cmp_eq_u64_e32 vcc_lo, v[2:3], v[4:5]
	v_mov_b64_e32 v[4:5], v[2:3]
	s_or_b32 s7, vcc_lo, s7
	s_delay_alu instid0(SALU_CYCLE_1)
	s_and_not1_b32 exec_lo, exec_lo, s7
	s_cbranch_execnz .LBB7_388
.LBB7_389:
	s_or_b32 exec_lo, exec_lo, s6
	v_mov_b32_e32 v5, 0
	s_mov_b32 s7, exec_lo
	s_mov_b32 s6, exec_lo
	v_mbcnt_lo_u32_b32 v4, s7, 0
	global_load_b64 v[2:3], v5, s[2:3] offset:16
	s_wait_xcnt 0x0
	v_cmpx_eq_u32_e32 0, v4
	s_cbranch_execz .LBB7_391
; %bb.390:
	s_bcnt1_i32_b32 s7, s7
	s_delay_alu instid0(SALU_CYCLE_1)
	v_mov_b32_e32 v4, s7
	global_wb scope:SCOPE_SYS
	s_wait_loadcnt 0x0
	s_wait_storecnt 0x0
	global_atomic_add_u64 v[2:3], v[4:5], off offset:8 scope:SCOPE_SYS
.LBB7_391:
	s_wait_xcnt 0x0
	s_or_b32 exec_lo, exec_lo, s6
	s_wait_loadcnt 0x0
	global_load_b64 v[4:5], v[2:3], off offset:16
	s_wait_loadcnt 0x0
	v_cmp_eq_u64_e32 vcc_lo, 0, v[4:5]
	s_cbranch_vccnz .LBB7_393
; %bb.392:
	global_load_b32 v2, v[2:3], off offset:24
	s_wait_xcnt 0x0
	v_mov_b32_e32 v3, 0
	s_wait_loadcnt 0x0
	v_readfirstlane_b32 s6, v2
	global_wb scope:SCOPE_SYS
	s_wait_storecnt 0x0
	global_store_b64 v[4:5], v[2:3], off scope:SCOPE_SYS
	s_and_b32 m0, s6, 0xffffff
	s_sendmsg sendmsg(MSG_INTERRUPT)
.LBB7_393:
	s_wait_xcnt 0x0
	s_or_b32 exec_lo, exec_lo, s1
	v_add_nc_u64_e32 v[2:3], v[6:7], v[0:1]
	s_branch .LBB7_397
.LBB7_394:                              ;   in Loop: Header=BB7_397 Depth=1
	s_wait_xcnt 0x0
	s_or_b32 exec_lo, exec_lo, s1
	s_delay_alu instid0(VALU_DEP_1)
	v_readfirstlane_b32 s1, v1
	s_cmp_eq_u32 s1, 0
	s_cbranch_scc1 .LBB7_396
; %bb.395:                              ;   in Loop: Header=BB7_397 Depth=1
	s_sleep 1
	s_cbranch_execnz .LBB7_397
	s_branch .LBB7_443
.LBB7_396:
	s_branch .LBB7_443
.LBB7_397:                              ; =>This Inner Loop Header: Depth=1
	v_mov_b32_e32 v1, 1
	s_and_saveexec_b32 s1, s0
	s_cbranch_execz .LBB7_394
; %bb.398:                              ;   in Loop: Header=BB7_397 Depth=1
	global_load_b32 v1, v[8:9], off offset:20 scope:SCOPE_SYS
	s_wait_loadcnt 0x0
	global_inv scope:SCOPE_SYS
	v_and_b32_e32 v1, 1, v1
	s_branch .LBB7_394
.LBB7_399:
	s_load_b64 s[2:3], s[50:51], 0x50
	v_mbcnt_lo_u32_b32 v32, -1, 0
	v_mov_b64_e32 v[2:3], 0
	s_delay_alu instid0(VALU_DEP_2) | instskip(NEXT) | instid1(VALU_DEP_1)
	v_readfirstlane_b32 s0, v32
	v_cmp_eq_u32_e64 s0, s0, v32
	s_and_saveexec_b32 s1, s0
	s_cbranch_execz .LBB7_405
; %bb.400:
	v_mov_b32_e32 v0, 0
	s_mov_b32 s4, exec_lo
	s_wait_kmcnt 0x0
	global_load_b64 v[4:5], v0, s[2:3] offset:24 scope:SCOPE_SYS
	s_wait_loadcnt 0x0
	global_inv scope:SCOPE_SYS
	s_clause 0x1
	global_load_b64 v[2:3], v0, s[2:3] offset:40
	global_load_b64 v[6:7], v0, s[2:3]
	s_wait_loadcnt 0x1
	v_and_b32_e32 v2, v2, v4
	v_and_b32_e32 v3, v3, v5
	s_delay_alu instid0(VALU_DEP_1) | instskip(SKIP_1) | instid1(VALU_DEP_1)
	v_mul_u64_e32 v[2:3], 24, v[2:3]
	s_wait_loadcnt 0x0
	v_add_nc_u64_e32 v[2:3], v[6:7], v[2:3]
	global_load_b64 v[2:3], v[2:3], off scope:SCOPE_SYS
	s_wait_xcnt 0x0
	s_wait_loadcnt 0x0
	global_atomic_cmpswap_b64 v[2:3], v0, v[2:5], s[2:3] offset:24 th:TH_ATOMIC_RETURN scope:SCOPE_SYS
	s_wait_loadcnt 0x0
	global_inv scope:SCOPE_SYS
	s_wait_xcnt 0x0
	v_cmpx_ne_u64_e64 v[2:3], v[4:5]
	s_cbranch_execz .LBB7_404
; %bb.401:
	s_mov_b32 s5, 0
.LBB7_402:                              ; =>This Inner Loop Header: Depth=1
	s_sleep 1
	s_clause 0x1
	global_load_b64 v[6:7], v0, s[2:3] offset:40
	global_load_b64 v[8:9], v0, s[2:3]
	v_mov_b64_e32 v[4:5], v[2:3]
	s_wait_loadcnt 0x1
	s_delay_alu instid0(VALU_DEP_1) | instskip(SKIP_1) | instid1(VALU_DEP_1)
	v_and_b32_e32 v1, v6, v4
	s_wait_loadcnt 0x0
	v_mad_nc_u64_u32 v[2:3], v1, 24, v[8:9]
	s_delay_alu instid0(VALU_DEP_3) | instskip(NEXT) | instid1(VALU_DEP_1)
	v_and_b32_e32 v1, v7, v5
	v_mad_u32 v3, v1, 24, v3
	global_load_b64 v[2:3], v[2:3], off scope:SCOPE_SYS
	s_wait_xcnt 0x0
	s_wait_loadcnt 0x0
	global_atomic_cmpswap_b64 v[2:3], v0, v[2:5], s[2:3] offset:24 th:TH_ATOMIC_RETURN scope:SCOPE_SYS
	s_wait_loadcnt 0x0
	global_inv scope:SCOPE_SYS
	v_cmp_eq_u64_e32 vcc_lo, v[2:3], v[4:5]
	s_or_b32 s5, vcc_lo, s5
	s_wait_xcnt 0x0
	s_and_not1_b32 exec_lo, exec_lo, s5
	s_cbranch_execnz .LBB7_402
; %bb.403:
	s_or_b32 exec_lo, exec_lo, s5
.LBB7_404:
	s_delay_alu instid0(SALU_CYCLE_1)
	s_or_b32 exec_lo, exec_lo, s4
.LBB7_405:
	s_delay_alu instid0(SALU_CYCLE_1)
	s_or_b32 exec_lo, exec_lo, s1
	v_readfirstlane_b32 s4, v2
	v_mov_b32_e32 v1, 0
	v_readfirstlane_b32 s5, v3
	s_mov_b32 s1, exec_lo
	s_wait_kmcnt 0x0
	global_load_b64 v[8:9], v1, s[2:3] offset:40
	s_wait_loadcnt 0x1
	global_load_b128 v[4:7], v1, s[2:3]
	s_wait_loadcnt 0x1
	v_and_b32_e32 v10, s4, v8
	v_and_b32_e32 v11, s5, v9
	s_delay_alu instid0(VALU_DEP_1) | instskip(SKIP_1) | instid1(VALU_DEP_1)
	v_mul_u64_e32 v[2:3], 24, v[10:11]
	s_wait_loadcnt 0x0
	v_add_nc_u64_e32 v[8:9], v[4:5], v[2:3]
	s_wait_xcnt 0x0
	s_and_saveexec_b32 s6, s0
	s_cbranch_execz .LBB7_407
; %bb.406:
	v_mov_b64_e32 v[2:3], 0x100000002
	v_mov_b32_e32 v0, s1
	global_store_b128 v[8:9], v[0:3], off offset:8
.LBB7_407:
	s_wait_xcnt 0x0
	s_or_b32 exec_lo, exec_lo, s6
	v_lshlrev_b64_e32 v[2:3], 12, v[10:11]
	s_mov_b32 s8, 0
	v_dual_lshlrev_b32 v0, 6, v32 :: v_dual_mov_b32 v10, 33
	s_mov_b32 s10, s8
	s_mov_b32 s11, s8
	;; [unrolled: 1-line block ×3, first 2 shown]
	s_delay_alu instid0(VALU_DEP_2)
	v_add_nc_u64_e32 v[6:7], v[6:7], v[2:3]
	v_mov_b64_e32 v[16:17], s[10:11]
	v_mov_b64_e32 v[14:15], s[8:9]
	v_dual_mov_b32 v11, v1 :: v_dual_mov_b32 v12, v1
	v_mov_b32_e32 v13, v1
	v_readfirstlane_b32 s6, v6
	v_readfirstlane_b32 s7, v7
	s_clause 0x3
	global_store_b128 v0, v[10:13], s[6:7]
	global_store_b128 v0, v[14:17], s[6:7] offset:16
	global_store_b128 v0, v[14:17], s[6:7] offset:32
	;; [unrolled: 1-line block ×3, first 2 shown]
	s_wait_xcnt 0x0
	s_and_saveexec_b32 s1, s0
	s_cbranch_execz .LBB7_415
; %bb.408:
	v_dual_mov_b32 v12, 0 :: v_dual_mov_b32 v15, s5
	s_mov_b32 s6, exec_lo
	s_clause 0x1
	global_load_b64 v[16:17], v12, s[2:3] offset:32 scope:SCOPE_SYS
	global_load_b64 v[2:3], v12, s[2:3] offset:40
	s_wait_loadcnt 0x0
	v_dual_mov_b32 v14, s4 :: v_dual_bitop2_b32 v3, s5, v3 bitop3:0x40
	v_and_b32_e32 v2, s4, v2
	s_delay_alu instid0(VALU_DEP_1) | instskip(NEXT) | instid1(VALU_DEP_1)
	v_mul_u64_e32 v[2:3], 24, v[2:3]
	v_add_nc_u64_e32 v[10:11], v[4:5], v[2:3]
	global_store_b64 v[10:11], v[16:17], off
	global_wb scope:SCOPE_SYS
	s_wait_storecnt 0x0
	s_wait_xcnt 0x0
	global_atomic_cmpswap_b64 v[4:5], v12, v[14:17], s[2:3] offset:32 th:TH_ATOMIC_RETURN scope:SCOPE_SYS
	s_wait_loadcnt 0x0
	v_cmpx_ne_u64_e64 v[4:5], v[16:17]
	s_cbranch_execz .LBB7_411
; %bb.409:
	s_mov_b32 s7, 0
.LBB7_410:                              ; =>This Inner Loop Header: Depth=1
	v_dual_mov_b32 v2, s4 :: v_dual_mov_b32 v3, s5
	s_sleep 1
	global_store_b64 v[10:11], v[4:5], off
	global_wb scope:SCOPE_SYS
	s_wait_storecnt 0x0
	s_wait_xcnt 0x0
	global_atomic_cmpswap_b64 v[2:3], v12, v[2:5], s[2:3] offset:32 th:TH_ATOMIC_RETURN scope:SCOPE_SYS
	s_wait_loadcnt 0x0
	v_cmp_eq_u64_e32 vcc_lo, v[2:3], v[4:5]
	v_mov_b64_e32 v[4:5], v[2:3]
	s_or_b32 s7, vcc_lo, s7
	s_delay_alu instid0(SALU_CYCLE_1)
	s_and_not1_b32 exec_lo, exec_lo, s7
	s_cbranch_execnz .LBB7_410
.LBB7_411:
	s_or_b32 exec_lo, exec_lo, s6
	v_mov_b32_e32 v5, 0
	s_mov_b32 s7, exec_lo
	s_mov_b32 s6, exec_lo
	v_mbcnt_lo_u32_b32 v4, s7, 0
	global_load_b64 v[2:3], v5, s[2:3] offset:16
	s_wait_xcnt 0x0
	v_cmpx_eq_u32_e32 0, v4
	s_cbranch_execz .LBB7_413
; %bb.412:
	s_bcnt1_i32_b32 s7, s7
	s_delay_alu instid0(SALU_CYCLE_1)
	v_mov_b32_e32 v4, s7
	global_wb scope:SCOPE_SYS
	s_wait_loadcnt 0x0
	s_wait_storecnt 0x0
	global_atomic_add_u64 v[2:3], v[4:5], off offset:8 scope:SCOPE_SYS
.LBB7_413:
	s_wait_xcnt 0x0
	s_or_b32 exec_lo, exec_lo, s6
	s_wait_loadcnt 0x0
	global_load_b64 v[4:5], v[2:3], off offset:16
	s_wait_loadcnt 0x0
	v_cmp_eq_u64_e32 vcc_lo, 0, v[4:5]
	s_cbranch_vccnz .LBB7_415
; %bb.414:
	global_load_b32 v2, v[2:3], off offset:24
	s_wait_xcnt 0x0
	v_mov_b32_e32 v3, 0
	s_wait_loadcnt 0x0
	v_readfirstlane_b32 s6, v2
	global_wb scope:SCOPE_SYS
	s_wait_storecnt 0x0
	global_store_b64 v[4:5], v[2:3], off scope:SCOPE_SYS
	s_and_b32 m0, s6, 0xffffff
	s_sendmsg sendmsg(MSG_INTERRUPT)
.LBB7_415:
	s_wait_xcnt 0x0
	s_or_b32 exec_lo, exec_lo, s1
	v_add_nc_u64_e32 v[2:3], v[6:7], v[0:1]
	s_branch .LBB7_419
.LBB7_416:                              ;   in Loop: Header=BB7_419 Depth=1
	s_wait_xcnt 0x0
	s_or_b32 exec_lo, exec_lo, s1
	s_delay_alu instid0(VALU_DEP_1)
	v_readfirstlane_b32 s1, v1
	s_cmp_eq_u32 s1, 0
	s_cbranch_scc1 .LBB7_418
; %bb.417:                              ;   in Loop: Header=BB7_419 Depth=1
	s_sleep 1
	s_cbranch_execnz .LBB7_419
	s_branch .LBB7_525
.LBB7_418:
	s_branch .LBB7_525
.LBB7_419:                              ; =>This Inner Loop Header: Depth=1
	v_mov_b32_e32 v1, 1
	s_and_saveexec_b32 s1, s0
	s_cbranch_execz .LBB7_416
; %bb.420:                              ;   in Loop: Header=BB7_419 Depth=1
	global_load_b32 v1, v[8:9], off offset:20 scope:SCOPE_SYS
	s_wait_loadcnt 0x0
	global_inv scope:SCOPE_SYS
	v_and_b32_e32 v1, 1, v1
	s_branch .LBB7_416
.LBB7_421:
	s_load_b64 s[2:3], s[50:51], 0x50
	v_mbcnt_lo_u32_b32 v32, -1, 0
	v_mov_b64_e32 v[2:3], 0
	s_delay_alu instid0(VALU_DEP_2) | instskip(NEXT) | instid1(VALU_DEP_1)
	v_readfirstlane_b32 s0, v32
	v_cmp_eq_u32_e64 s0, s0, v32
	s_and_saveexec_b32 s1, s0
	s_cbranch_execz .LBB7_427
; %bb.422:
	v_mov_b32_e32 v0, 0
	s_mov_b32 s4, exec_lo
	s_wait_kmcnt 0x0
	global_load_b64 v[4:5], v0, s[2:3] offset:24 scope:SCOPE_SYS
	s_wait_loadcnt 0x0
	global_inv scope:SCOPE_SYS
	s_clause 0x1
	global_load_b64 v[2:3], v0, s[2:3] offset:40
	global_load_b64 v[6:7], v0, s[2:3]
	s_wait_loadcnt 0x1
	v_and_b32_e32 v2, v2, v4
	v_and_b32_e32 v3, v3, v5
	s_delay_alu instid0(VALU_DEP_1) | instskip(SKIP_1) | instid1(VALU_DEP_1)
	v_mul_u64_e32 v[2:3], 24, v[2:3]
	s_wait_loadcnt 0x0
	v_add_nc_u64_e32 v[2:3], v[6:7], v[2:3]
	global_load_b64 v[2:3], v[2:3], off scope:SCOPE_SYS
	s_wait_xcnt 0x0
	s_wait_loadcnt 0x0
	global_atomic_cmpswap_b64 v[2:3], v0, v[2:5], s[2:3] offset:24 th:TH_ATOMIC_RETURN scope:SCOPE_SYS
	s_wait_loadcnt 0x0
	global_inv scope:SCOPE_SYS
	s_wait_xcnt 0x0
	v_cmpx_ne_u64_e64 v[2:3], v[4:5]
	s_cbranch_execz .LBB7_426
; %bb.423:
	s_mov_b32 s5, 0
.LBB7_424:                              ; =>This Inner Loop Header: Depth=1
	s_sleep 1
	s_clause 0x1
	global_load_b64 v[6:7], v0, s[2:3] offset:40
	global_load_b64 v[8:9], v0, s[2:3]
	v_mov_b64_e32 v[4:5], v[2:3]
	s_wait_loadcnt 0x1
	s_delay_alu instid0(VALU_DEP_1) | instskip(SKIP_1) | instid1(VALU_DEP_1)
	v_and_b32_e32 v1, v6, v4
	s_wait_loadcnt 0x0
	v_mad_nc_u64_u32 v[2:3], v1, 24, v[8:9]
	s_delay_alu instid0(VALU_DEP_3) | instskip(NEXT) | instid1(VALU_DEP_1)
	v_and_b32_e32 v1, v7, v5
	v_mad_u32 v3, v1, 24, v3
	global_load_b64 v[2:3], v[2:3], off scope:SCOPE_SYS
	s_wait_xcnt 0x0
	s_wait_loadcnt 0x0
	global_atomic_cmpswap_b64 v[2:3], v0, v[2:5], s[2:3] offset:24 th:TH_ATOMIC_RETURN scope:SCOPE_SYS
	s_wait_loadcnt 0x0
	global_inv scope:SCOPE_SYS
	v_cmp_eq_u64_e32 vcc_lo, v[2:3], v[4:5]
	s_or_b32 s5, vcc_lo, s5
	s_wait_xcnt 0x0
	s_and_not1_b32 exec_lo, exec_lo, s5
	s_cbranch_execnz .LBB7_424
; %bb.425:
	s_or_b32 exec_lo, exec_lo, s5
.LBB7_426:
	s_delay_alu instid0(SALU_CYCLE_1)
	s_or_b32 exec_lo, exec_lo, s4
.LBB7_427:
	s_delay_alu instid0(SALU_CYCLE_1)
	s_or_b32 exec_lo, exec_lo, s1
	v_readfirstlane_b32 s4, v2
	v_mov_b32_e32 v1, 0
	v_readfirstlane_b32 s5, v3
	s_mov_b32 s1, exec_lo
	s_wait_kmcnt 0x0
	global_load_b64 v[8:9], v1, s[2:3] offset:40
	s_wait_loadcnt 0x1
	global_load_b128 v[4:7], v1, s[2:3]
	s_wait_loadcnt 0x1
	v_and_b32_e32 v10, s4, v8
	v_and_b32_e32 v11, s5, v9
	s_delay_alu instid0(VALU_DEP_1) | instskip(SKIP_1) | instid1(VALU_DEP_1)
	v_mul_u64_e32 v[2:3], 24, v[10:11]
	s_wait_loadcnt 0x0
	v_add_nc_u64_e32 v[8:9], v[4:5], v[2:3]
	s_wait_xcnt 0x0
	s_and_saveexec_b32 s6, s0
	s_cbranch_execz .LBB7_429
; %bb.428:
	v_mov_b64_e32 v[2:3], 0x100000002
	v_mov_b32_e32 v0, s1
	global_store_b128 v[8:9], v[0:3], off offset:8
.LBB7_429:
	s_wait_xcnt 0x0
	s_or_b32 exec_lo, exec_lo, s6
	v_lshlrev_b64_e32 v[2:3], 12, v[10:11]
	s_mov_b32 s8, 0
	v_dual_lshlrev_b32 v0, 6, v32 :: v_dual_mov_b32 v10, 33
	s_mov_b32 s10, s8
	s_mov_b32 s11, s8
	;; [unrolled: 1-line block ×3, first 2 shown]
	s_delay_alu instid0(VALU_DEP_2)
	v_add_nc_u64_e32 v[6:7], v[6:7], v[2:3]
	v_mov_b64_e32 v[16:17], s[10:11]
	v_mov_b64_e32 v[14:15], s[8:9]
	v_dual_mov_b32 v11, v1 :: v_dual_mov_b32 v12, v1
	v_mov_b32_e32 v13, v1
	v_readfirstlane_b32 s6, v6
	v_readfirstlane_b32 s7, v7
	s_clause 0x3
	global_store_b128 v0, v[10:13], s[6:7]
	global_store_b128 v0, v[14:17], s[6:7] offset:16
	global_store_b128 v0, v[14:17], s[6:7] offset:32
	;; [unrolled: 1-line block ×3, first 2 shown]
	s_wait_xcnt 0x0
	s_and_saveexec_b32 s1, s0
	s_cbranch_execz .LBB7_437
; %bb.430:
	v_dual_mov_b32 v12, 0 :: v_dual_mov_b32 v15, s5
	s_mov_b32 s6, exec_lo
	s_clause 0x1
	global_load_b64 v[16:17], v12, s[2:3] offset:32 scope:SCOPE_SYS
	global_load_b64 v[2:3], v12, s[2:3] offset:40
	s_wait_loadcnt 0x0
	v_dual_mov_b32 v14, s4 :: v_dual_bitop2_b32 v3, s5, v3 bitop3:0x40
	v_and_b32_e32 v2, s4, v2
	s_delay_alu instid0(VALU_DEP_1) | instskip(NEXT) | instid1(VALU_DEP_1)
	v_mul_u64_e32 v[2:3], 24, v[2:3]
	v_add_nc_u64_e32 v[10:11], v[4:5], v[2:3]
	global_store_b64 v[10:11], v[16:17], off
	global_wb scope:SCOPE_SYS
	s_wait_storecnt 0x0
	s_wait_xcnt 0x0
	global_atomic_cmpswap_b64 v[4:5], v12, v[14:17], s[2:3] offset:32 th:TH_ATOMIC_RETURN scope:SCOPE_SYS
	s_wait_loadcnt 0x0
	v_cmpx_ne_u64_e64 v[4:5], v[16:17]
	s_cbranch_execz .LBB7_433
; %bb.431:
	s_mov_b32 s7, 0
.LBB7_432:                              ; =>This Inner Loop Header: Depth=1
	v_dual_mov_b32 v2, s4 :: v_dual_mov_b32 v3, s5
	s_sleep 1
	global_store_b64 v[10:11], v[4:5], off
	global_wb scope:SCOPE_SYS
	s_wait_storecnt 0x0
	s_wait_xcnt 0x0
	global_atomic_cmpswap_b64 v[2:3], v12, v[2:5], s[2:3] offset:32 th:TH_ATOMIC_RETURN scope:SCOPE_SYS
	s_wait_loadcnt 0x0
	v_cmp_eq_u64_e32 vcc_lo, v[2:3], v[4:5]
	v_mov_b64_e32 v[4:5], v[2:3]
	s_or_b32 s7, vcc_lo, s7
	s_delay_alu instid0(SALU_CYCLE_1)
	s_and_not1_b32 exec_lo, exec_lo, s7
	s_cbranch_execnz .LBB7_432
.LBB7_433:
	s_or_b32 exec_lo, exec_lo, s6
	v_mov_b32_e32 v5, 0
	s_mov_b32 s7, exec_lo
	s_mov_b32 s6, exec_lo
	v_mbcnt_lo_u32_b32 v4, s7, 0
	global_load_b64 v[2:3], v5, s[2:3] offset:16
	s_wait_xcnt 0x0
	v_cmpx_eq_u32_e32 0, v4
	s_cbranch_execz .LBB7_435
; %bb.434:
	s_bcnt1_i32_b32 s7, s7
	s_delay_alu instid0(SALU_CYCLE_1)
	v_mov_b32_e32 v4, s7
	global_wb scope:SCOPE_SYS
	s_wait_loadcnt 0x0
	s_wait_storecnt 0x0
	global_atomic_add_u64 v[2:3], v[4:5], off offset:8 scope:SCOPE_SYS
.LBB7_435:
	s_wait_xcnt 0x0
	s_or_b32 exec_lo, exec_lo, s6
	s_wait_loadcnt 0x0
	global_load_b64 v[4:5], v[2:3], off offset:16
	s_wait_loadcnt 0x0
	v_cmp_eq_u64_e32 vcc_lo, 0, v[4:5]
	s_cbranch_vccnz .LBB7_437
; %bb.436:
	global_load_b32 v2, v[2:3], off offset:24
	s_wait_xcnt 0x0
	v_mov_b32_e32 v3, 0
	s_wait_loadcnt 0x0
	v_readfirstlane_b32 s6, v2
	global_wb scope:SCOPE_SYS
	s_wait_storecnt 0x0
	global_store_b64 v[4:5], v[2:3], off scope:SCOPE_SYS
	s_and_b32 m0, s6, 0xffffff
	s_sendmsg sendmsg(MSG_INTERRUPT)
.LBB7_437:
	s_wait_xcnt 0x0
	s_or_b32 exec_lo, exec_lo, s1
	v_add_nc_u64_e32 v[2:3], v[6:7], v[0:1]
	s_branch .LBB7_441
.LBB7_438:                              ;   in Loop: Header=BB7_441 Depth=1
	s_wait_xcnt 0x0
	s_or_b32 exec_lo, exec_lo, s1
	s_delay_alu instid0(VALU_DEP_1)
	v_readfirstlane_b32 s1, v1
	s_cmp_eq_u32 s1, 0
	s_cbranch_scc1 .LBB7_440
; %bb.439:                              ;   in Loop: Header=BB7_441 Depth=1
	s_sleep 1
	s_cbranch_execnz .LBB7_441
	s_branch .LBB7_607
.LBB7_440:
	s_branch .LBB7_607
.LBB7_441:                              ; =>This Inner Loop Header: Depth=1
	v_mov_b32_e32 v1, 1
	s_and_saveexec_b32 s1, s0
	s_cbranch_execz .LBB7_438
; %bb.442:                              ;   in Loop: Header=BB7_441 Depth=1
	global_load_b32 v1, v[8:9], off offset:20 scope:SCOPE_SYS
	s_wait_loadcnt 0x0
	global_inv scope:SCOPE_SYS
	v_and_b32_e32 v1, 1, v1
	s_branch .LBB7_438
.LBB7_443:
	global_load_b64 v[2:3], v[2:3], off
	s_wait_xcnt 0x0
	s_and_saveexec_b32 s6, s0
	s_cbranch_execz .LBB7_447
; %bb.444:
	v_mov_b32_e32 v1, 0
	s_clause 0x2
	global_load_b64 v[4:5], v1, s[2:3] offset:40
	global_load_b64 v[12:13], v1, s[2:3] offset:24 scope:SCOPE_SYS
	global_load_b64 v[6:7], v1, s[2:3]
	s_wait_loadcnt 0x2
	v_readfirstlane_b32 s8, v4
	v_readfirstlane_b32 s9, v5
	s_add_nc_u64 s[0:1], s[8:9], 1
	s_delay_alu instid0(SALU_CYCLE_1) | instskip(NEXT) | instid1(SALU_CYCLE_1)
	s_add_nc_u64 s[4:5], s[0:1], s[4:5]
	s_cmp_eq_u64 s[4:5], 0
	s_cselect_b32 s1, s1, s5
	s_cselect_b32 s0, s0, s4
	v_mov_b32_e32 v11, s1
	s_and_b64 s[4:5], s[0:1], s[8:9]
	v_mov_b32_e32 v10, s0
	s_mul_u64 s[4:5], s[4:5], 24
	s_wait_loadcnt 0x0
	v_add_nc_u64_e32 v[8:9], s[4:5], v[6:7]
	global_store_b64 v[8:9], v[12:13], off
	global_wb scope:SCOPE_SYS
	s_wait_storecnt 0x0
	s_wait_xcnt 0x0
	global_atomic_cmpswap_b64 v[6:7], v1, v[10:13], s[2:3] offset:24 th:TH_ATOMIC_RETURN scope:SCOPE_SYS
	s_wait_loadcnt 0x0
	v_cmp_ne_u64_e32 vcc_lo, v[6:7], v[12:13]
	s_and_b32 exec_lo, exec_lo, vcc_lo
	s_cbranch_execz .LBB7_447
; %bb.445:
	s_mov_b32 s4, 0
.LBB7_446:                              ; =>This Inner Loop Header: Depth=1
	v_dual_mov_b32 v4, s0 :: v_dual_mov_b32 v5, s1
	s_sleep 1
	global_store_b64 v[8:9], v[6:7], off
	global_wb scope:SCOPE_SYS
	s_wait_storecnt 0x0
	s_wait_xcnt 0x0
	global_atomic_cmpswap_b64 v[4:5], v1, v[4:7], s[2:3] offset:24 th:TH_ATOMIC_RETURN scope:SCOPE_SYS
	s_wait_loadcnt 0x0
	v_cmp_eq_u64_e32 vcc_lo, v[4:5], v[6:7]
	v_mov_b64_e32 v[6:7], v[4:5]
	s_or_b32 s4, vcc_lo, s4
	s_delay_alu instid0(SALU_CYCLE_1)
	s_and_not1_b32 exec_lo, exec_lo, s4
	s_cbranch_execnz .LBB7_446
.LBB7_447:
	s_or_b32 exec_lo, exec_lo, s6
	s_get_pc_i64 s[4:5]
	s_add_nc_u64 s[4:5], s[4:5], .str.28@rel64+4
	s_delay_alu instid0(SALU_CYCLE_1)
	s_cmp_lg_u64 s[4:5], 0
	s_cbranch_scc0 .LBB7_692
; %bb.448:
	v_mov_b64_e32 v[6:7], 0x100000002
	s_wait_loadcnt 0x0
	v_dual_mov_b32 v9, v3 :: v_dual_bitop2_b32 v8, -3, v2 bitop3:0x40
	v_mov_b32_e32 v5, 0
	s_mov_b64 s[6:7], 35
	s_branch .LBB7_450
.LBB7_449:                              ;   in Loop: Header=BB7_450 Depth=1
	s_or_b32 exec_lo, exec_lo, s12
	s_sub_nc_u64 s[6:7], s[6:7], s[8:9]
	s_add_nc_u64 s[4:5], s[4:5], s[8:9]
	s_cmp_lg_u64 s[6:7], 0
	s_cbranch_scc0 .LBB7_689
.LBB7_450:                              ; =>This Loop Header: Depth=1
                                        ;     Child Loop BB7_453 Depth 2
                                        ;     Child Loop BB7_460 Depth 2
	;; [unrolled: 1-line block ×11, first 2 shown]
	s_wait_loadcnt 0x0
	v_min_u64 v[10:11], s[6:7], 56
	v_cmp_gt_u64_e64 s0, s[6:7], 7
	s_and_b32 vcc_lo, exec_lo, s0
	v_readfirstlane_b32 s8, v10
	v_readfirstlane_b32 s9, v11
	s_cbranch_vccnz .LBB7_455
; %bb.451:                              ;   in Loop: Header=BB7_450 Depth=1
	v_mov_b64_e32 v[10:11], 0
	s_cmp_eq_u64 s[6:7], 0
	s_cbranch_scc1 .LBB7_454
; %bb.452:                              ;   in Loop: Header=BB7_450 Depth=1
	s_mov_b64 s[0:1], 0
	s_mov_b64 s[10:11], 0
.LBB7_453:                              ;   Parent Loop BB7_450 Depth=1
                                        ; =>  This Inner Loop Header: Depth=2
	s_wait_xcnt 0x0
	s_add_nc_u64 s[12:13], s[4:5], s[10:11]
	s_add_nc_u64 s[10:11], s[10:11], 1
	global_load_u8 v1, v5, s[12:13]
	s_cmp_lg_u32 s8, s10
	s_wait_loadcnt 0x0
	v_and_b32_e32 v4, 0xffff, v1
	s_delay_alu instid0(VALU_DEP_1) | instskip(SKIP_1) | instid1(VALU_DEP_1)
	v_lshlrev_b64_e32 v[12:13], s0, v[4:5]
	s_add_nc_u64 s[0:1], s[0:1], 8
	v_or_b32_e32 v10, v12, v10
	s_delay_alu instid0(VALU_DEP_2)
	v_or_b32_e32 v11, v13, v11
	s_cbranch_scc1 .LBB7_453
.LBB7_454:                              ;   in Loop: Header=BB7_450 Depth=1
	s_mov_b64 s[10:11], s[4:5]
	s_mov_b32 s14, 0
	s_cbranch_execz .LBB7_456
	s_branch .LBB7_457
.LBB7_455:                              ;   in Loop: Header=BB7_450 Depth=1
	s_add_nc_u64 s[10:11], s[4:5], 8
	s_mov_b32 s14, 0
.LBB7_456:                              ;   in Loop: Header=BB7_450 Depth=1
	global_load_b64 v[10:11], v5, s[4:5]
	s_add_co_i32 s14, s8, -8
.LBB7_457:                              ;   in Loop: Header=BB7_450 Depth=1
	s_delay_alu instid0(SALU_CYCLE_1)
	s_cmp_gt_u32 s14, 7
	s_cbranch_scc1 .LBB7_462
; %bb.458:                              ;   in Loop: Header=BB7_450 Depth=1
	v_mov_b64_e32 v[12:13], 0
	s_cmp_eq_u32 s14, 0
	s_cbranch_scc1 .LBB7_461
; %bb.459:                              ;   in Loop: Header=BB7_450 Depth=1
	s_mov_b64 s[0:1], 0
	s_wait_xcnt 0x0
	s_mov_b64 s[12:13], 0
.LBB7_460:                              ;   Parent Loop BB7_450 Depth=1
                                        ; =>  This Inner Loop Header: Depth=2
	s_wait_xcnt 0x0
	s_add_nc_u64 s[30:31], s[10:11], s[12:13]
	s_add_nc_u64 s[12:13], s[12:13], 1
	global_load_u8 v1, v5, s[30:31]
	s_cmp_lg_u32 s14, s12
	s_wait_loadcnt 0x0
	v_and_b32_e32 v4, 0xffff, v1
	s_delay_alu instid0(VALU_DEP_1) | instskip(SKIP_1) | instid1(VALU_DEP_1)
	v_lshlrev_b64_e32 v[14:15], s0, v[4:5]
	s_add_nc_u64 s[0:1], s[0:1], 8
	v_or_b32_e32 v12, v14, v12
	s_delay_alu instid0(VALU_DEP_2)
	v_or_b32_e32 v13, v15, v13
	s_cbranch_scc1 .LBB7_460
.LBB7_461:                              ;   in Loop: Header=BB7_450 Depth=1
	s_wait_xcnt 0x0
	s_mov_b64 s[0:1], s[10:11]
	s_mov_b32 s15, 0
	s_cbranch_execz .LBB7_463
	s_branch .LBB7_464
.LBB7_462:                              ;   in Loop: Header=BB7_450 Depth=1
	s_add_nc_u64 s[0:1], s[10:11], 8
	s_wait_xcnt 0x0
                                        ; implicit-def: $vgpr12_vgpr13
	s_mov_b32 s15, 0
.LBB7_463:                              ;   in Loop: Header=BB7_450 Depth=1
	global_load_b64 v[12:13], v5, s[10:11]
	s_add_co_i32 s15, s14, -8
.LBB7_464:                              ;   in Loop: Header=BB7_450 Depth=1
	s_delay_alu instid0(SALU_CYCLE_1)
	s_cmp_gt_u32 s15, 7
	s_cbranch_scc1 .LBB7_469
; %bb.465:                              ;   in Loop: Header=BB7_450 Depth=1
	v_mov_b64_e32 v[14:15], 0
	s_cmp_eq_u32 s15, 0
	s_cbranch_scc1 .LBB7_468
; %bb.466:                              ;   in Loop: Header=BB7_450 Depth=1
	s_wait_xcnt 0x0
	s_mov_b64 s[10:11], 0
	s_mov_b64 s[12:13], 0
.LBB7_467:                              ;   Parent Loop BB7_450 Depth=1
                                        ; =>  This Inner Loop Header: Depth=2
	s_wait_xcnt 0x0
	s_add_nc_u64 s[30:31], s[0:1], s[12:13]
	s_add_nc_u64 s[12:13], s[12:13], 1
	global_load_u8 v1, v5, s[30:31]
	s_cmp_lg_u32 s15, s12
	s_wait_loadcnt 0x0
	v_and_b32_e32 v4, 0xffff, v1
	s_delay_alu instid0(VALU_DEP_1) | instskip(SKIP_1) | instid1(VALU_DEP_1)
	v_lshlrev_b64_e32 v[16:17], s10, v[4:5]
	s_add_nc_u64 s[10:11], s[10:11], 8
	v_or_b32_e32 v14, v16, v14
	s_delay_alu instid0(VALU_DEP_2)
	v_or_b32_e32 v15, v17, v15
	s_cbranch_scc1 .LBB7_467
.LBB7_468:                              ;   in Loop: Header=BB7_450 Depth=1
	s_wait_xcnt 0x0
	s_mov_b64 s[10:11], s[0:1]
	s_mov_b32 s14, 0
	s_cbranch_execz .LBB7_470
	s_branch .LBB7_471
.LBB7_469:                              ;   in Loop: Header=BB7_450 Depth=1
	s_wait_xcnt 0x0
	s_add_nc_u64 s[10:11], s[0:1], 8
	s_mov_b32 s14, 0
.LBB7_470:                              ;   in Loop: Header=BB7_450 Depth=1
	global_load_b64 v[14:15], v5, s[0:1]
	s_add_co_i32 s14, s15, -8
.LBB7_471:                              ;   in Loop: Header=BB7_450 Depth=1
	s_delay_alu instid0(SALU_CYCLE_1)
	s_cmp_gt_u32 s14, 7
	s_cbranch_scc1 .LBB7_476
; %bb.472:                              ;   in Loop: Header=BB7_450 Depth=1
	v_mov_b64_e32 v[16:17], 0
	s_cmp_eq_u32 s14, 0
	s_cbranch_scc1 .LBB7_475
; %bb.473:                              ;   in Loop: Header=BB7_450 Depth=1
	s_wait_xcnt 0x0
	s_mov_b64 s[0:1], 0
	s_mov_b64 s[12:13], 0
.LBB7_474:                              ;   Parent Loop BB7_450 Depth=1
                                        ; =>  This Inner Loop Header: Depth=2
	s_wait_xcnt 0x0
	s_add_nc_u64 s[30:31], s[10:11], s[12:13]
	s_add_nc_u64 s[12:13], s[12:13], 1
	global_load_u8 v1, v5, s[30:31]
	s_cmp_lg_u32 s14, s12
	s_wait_loadcnt 0x0
	v_and_b32_e32 v4, 0xffff, v1
	s_delay_alu instid0(VALU_DEP_1) | instskip(SKIP_1) | instid1(VALU_DEP_1)
	v_lshlrev_b64_e32 v[18:19], s0, v[4:5]
	s_add_nc_u64 s[0:1], s[0:1], 8
	v_or_b32_e32 v16, v18, v16
	s_delay_alu instid0(VALU_DEP_2)
	v_or_b32_e32 v17, v19, v17
	s_cbranch_scc1 .LBB7_474
.LBB7_475:                              ;   in Loop: Header=BB7_450 Depth=1
	s_wait_xcnt 0x0
	s_mov_b64 s[0:1], s[10:11]
	s_mov_b32 s15, 0
	s_cbranch_execz .LBB7_477
	s_branch .LBB7_478
.LBB7_476:                              ;   in Loop: Header=BB7_450 Depth=1
	s_wait_xcnt 0x0
	s_add_nc_u64 s[0:1], s[10:11], 8
                                        ; implicit-def: $vgpr16_vgpr17
	s_mov_b32 s15, 0
.LBB7_477:                              ;   in Loop: Header=BB7_450 Depth=1
	global_load_b64 v[16:17], v5, s[10:11]
	s_add_co_i32 s15, s14, -8
.LBB7_478:                              ;   in Loop: Header=BB7_450 Depth=1
	s_delay_alu instid0(SALU_CYCLE_1)
	s_cmp_gt_u32 s15, 7
	s_cbranch_scc1 .LBB7_483
; %bb.479:                              ;   in Loop: Header=BB7_450 Depth=1
	v_mov_b64_e32 v[18:19], 0
	s_cmp_eq_u32 s15, 0
	s_cbranch_scc1 .LBB7_482
; %bb.480:                              ;   in Loop: Header=BB7_450 Depth=1
	s_wait_xcnt 0x0
	s_mov_b64 s[10:11], 0
	s_mov_b64 s[12:13], 0
.LBB7_481:                              ;   Parent Loop BB7_450 Depth=1
                                        ; =>  This Inner Loop Header: Depth=2
	s_wait_xcnt 0x0
	s_add_nc_u64 s[30:31], s[0:1], s[12:13]
	s_add_nc_u64 s[12:13], s[12:13], 1
	global_load_u8 v1, v5, s[30:31]
	s_cmp_lg_u32 s15, s12
	s_wait_loadcnt 0x0
	v_and_b32_e32 v4, 0xffff, v1
	s_delay_alu instid0(VALU_DEP_1) | instskip(SKIP_1) | instid1(VALU_DEP_1)
	v_lshlrev_b64_e32 v[20:21], s10, v[4:5]
	s_add_nc_u64 s[10:11], s[10:11], 8
	v_or_b32_e32 v18, v20, v18
	s_delay_alu instid0(VALU_DEP_2)
	v_or_b32_e32 v19, v21, v19
	s_cbranch_scc1 .LBB7_481
.LBB7_482:                              ;   in Loop: Header=BB7_450 Depth=1
	s_wait_xcnt 0x0
	s_mov_b64 s[10:11], s[0:1]
	s_mov_b32 s14, 0
	s_cbranch_execz .LBB7_484
	s_branch .LBB7_485
.LBB7_483:                              ;   in Loop: Header=BB7_450 Depth=1
	s_wait_xcnt 0x0
	s_add_nc_u64 s[10:11], s[0:1], 8
	s_mov_b32 s14, 0
.LBB7_484:                              ;   in Loop: Header=BB7_450 Depth=1
	global_load_b64 v[18:19], v5, s[0:1]
	s_add_co_i32 s14, s15, -8
.LBB7_485:                              ;   in Loop: Header=BB7_450 Depth=1
	s_delay_alu instid0(SALU_CYCLE_1)
	s_cmp_gt_u32 s14, 7
	s_cbranch_scc1 .LBB7_490
; %bb.486:                              ;   in Loop: Header=BB7_450 Depth=1
	v_mov_b64_e32 v[20:21], 0
	s_cmp_eq_u32 s14, 0
	s_cbranch_scc1 .LBB7_489
; %bb.487:                              ;   in Loop: Header=BB7_450 Depth=1
	s_wait_xcnt 0x0
	s_mov_b64 s[0:1], 0
	s_mov_b64 s[12:13], 0
.LBB7_488:                              ;   Parent Loop BB7_450 Depth=1
                                        ; =>  This Inner Loop Header: Depth=2
	s_wait_xcnt 0x0
	s_add_nc_u64 s[30:31], s[10:11], s[12:13]
	s_add_nc_u64 s[12:13], s[12:13], 1
	global_load_u8 v1, v5, s[30:31]
	s_cmp_lg_u32 s14, s12
	s_wait_loadcnt 0x0
	v_and_b32_e32 v4, 0xffff, v1
	s_delay_alu instid0(VALU_DEP_1) | instskip(SKIP_1) | instid1(VALU_DEP_1)
	v_lshlrev_b64_e32 v[22:23], s0, v[4:5]
	s_add_nc_u64 s[0:1], s[0:1], 8
	v_or_b32_e32 v20, v22, v20
	s_delay_alu instid0(VALU_DEP_2)
	v_or_b32_e32 v21, v23, v21
	s_cbranch_scc1 .LBB7_488
.LBB7_489:                              ;   in Loop: Header=BB7_450 Depth=1
	s_wait_xcnt 0x0
	s_mov_b64 s[0:1], s[10:11]
	s_mov_b32 s15, 0
	s_cbranch_execz .LBB7_491
	s_branch .LBB7_492
.LBB7_490:                              ;   in Loop: Header=BB7_450 Depth=1
	s_wait_xcnt 0x0
	s_add_nc_u64 s[0:1], s[10:11], 8
                                        ; implicit-def: $vgpr20_vgpr21
	s_mov_b32 s15, 0
.LBB7_491:                              ;   in Loop: Header=BB7_450 Depth=1
	global_load_b64 v[20:21], v5, s[10:11]
	s_add_co_i32 s15, s14, -8
.LBB7_492:                              ;   in Loop: Header=BB7_450 Depth=1
	s_delay_alu instid0(SALU_CYCLE_1)
	s_cmp_gt_u32 s15, 7
	s_cbranch_scc1 .LBB7_497
; %bb.493:                              ;   in Loop: Header=BB7_450 Depth=1
	v_mov_b64_e32 v[22:23], 0
	s_cmp_eq_u32 s15, 0
	s_cbranch_scc1 .LBB7_496
; %bb.494:                              ;   in Loop: Header=BB7_450 Depth=1
	s_wait_xcnt 0x0
	s_mov_b64 s[10:11], 0
	s_mov_b64 s[12:13], s[0:1]
.LBB7_495:                              ;   Parent Loop BB7_450 Depth=1
                                        ; =>  This Inner Loop Header: Depth=2
	global_load_u8 v1, v5, s[12:13]
	s_add_co_i32 s15, s15, -1
	s_wait_xcnt 0x0
	s_add_nc_u64 s[12:13], s[12:13], 1
	s_cmp_lg_u32 s15, 0
	s_wait_loadcnt 0x0
	v_and_b32_e32 v4, 0xffff, v1
	s_delay_alu instid0(VALU_DEP_1) | instskip(SKIP_1) | instid1(VALU_DEP_1)
	v_lshlrev_b64_e32 v[24:25], s10, v[4:5]
	s_add_nc_u64 s[10:11], s[10:11], 8
	v_or_b32_e32 v22, v24, v22
	s_delay_alu instid0(VALU_DEP_2)
	v_or_b32_e32 v23, v25, v23
	s_cbranch_scc1 .LBB7_495
.LBB7_496:                              ;   in Loop: Header=BB7_450 Depth=1
	s_wait_xcnt 0x0
	s_cbranch_execz .LBB7_498
	s_branch .LBB7_499
.LBB7_497:                              ;   in Loop: Header=BB7_450 Depth=1
	s_wait_xcnt 0x0
.LBB7_498:                              ;   in Loop: Header=BB7_450 Depth=1
	global_load_b64 v[22:23], v5, s[0:1]
.LBB7_499:                              ;   in Loop: Header=BB7_450 Depth=1
	s_wait_xcnt 0x0
	v_readfirstlane_b32 s0, v32
	v_mov_b64_e32 v[28:29], 0
	s_delay_alu instid0(VALU_DEP_2)
	v_cmp_eq_u32_e64 s0, s0, v32
	s_and_saveexec_b32 s1, s0
	s_cbranch_execz .LBB7_505
; %bb.500:                              ;   in Loop: Header=BB7_450 Depth=1
	global_load_b64 v[26:27], v5, s[2:3] offset:24 scope:SCOPE_SYS
	s_wait_loadcnt 0x0
	global_inv scope:SCOPE_SYS
	s_clause 0x1
	global_load_b64 v[24:25], v5, s[2:3] offset:40
	global_load_b64 v[28:29], v5, s[2:3]
	s_mov_b32 s10, exec_lo
	s_wait_loadcnt 0x1
	v_and_b32_e32 v24, v24, v26
	v_and_b32_e32 v25, v25, v27
	s_delay_alu instid0(VALU_DEP_1) | instskip(SKIP_1) | instid1(VALU_DEP_1)
	v_mul_u64_e32 v[24:25], 24, v[24:25]
	s_wait_loadcnt 0x0
	v_add_nc_u64_e32 v[24:25], v[28:29], v[24:25]
	global_load_b64 v[24:25], v[24:25], off scope:SCOPE_SYS
	s_wait_xcnt 0x0
	s_wait_loadcnt 0x0
	global_atomic_cmpswap_b64 v[28:29], v5, v[24:27], s[2:3] offset:24 th:TH_ATOMIC_RETURN scope:SCOPE_SYS
	s_wait_loadcnt 0x0
	global_inv scope:SCOPE_SYS
	s_wait_xcnt 0x0
	v_cmpx_ne_u64_e64 v[28:29], v[26:27]
	s_cbranch_execz .LBB7_504
; %bb.501:                              ;   in Loop: Header=BB7_450 Depth=1
	s_mov_b32 s11, 0
.LBB7_502:                              ;   Parent Loop BB7_450 Depth=1
                                        ; =>  This Inner Loop Header: Depth=2
	s_sleep 1
	s_clause 0x1
	global_load_b64 v[24:25], v5, s[2:3] offset:40
	global_load_b64 v[30:31], v5, s[2:3]
	v_mov_b64_e32 v[26:27], v[28:29]
	s_wait_loadcnt 0x1
	s_delay_alu instid0(VALU_DEP_1) | instskip(SKIP_1) | instid1(VALU_DEP_1)
	v_and_b32_e32 v1, v24, v26
	s_wait_loadcnt 0x0
	v_mad_nc_u64_u32 v[28:29], v1, 24, v[30:31]
	s_delay_alu instid0(VALU_DEP_3) | instskip(NEXT) | instid1(VALU_DEP_1)
	v_and_b32_e32 v1, v25, v27
	v_mad_u32 v29, v1, 24, v29
	global_load_b64 v[24:25], v[28:29], off scope:SCOPE_SYS
	s_wait_xcnt 0x0
	s_wait_loadcnt 0x0
	global_atomic_cmpswap_b64 v[28:29], v5, v[24:27], s[2:3] offset:24 th:TH_ATOMIC_RETURN scope:SCOPE_SYS
	s_wait_loadcnt 0x0
	global_inv scope:SCOPE_SYS
	v_cmp_eq_u64_e32 vcc_lo, v[28:29], v[26:27]
	s_or_b32 s11, vcc_lo, s11
	s_wait_xcnt 0x0
	s_and_not1_b32 exec_lo, exec_lo, s11
	s_cbranch_execnz .LBB7_502
; %bb.503:                              ;   in Loop: Header=BB7_450 Depth=1
	s_or_b32 exec_lo, exec_lo, s11
.LBB7_504:                              ;   in Loop: Header=BB7_450 Depth=1
	s_delay_alu instid0(SALU_CYCLE_1)
	s_or_b32 exec_lo, exec_lo, s10
.LBB7_505:                              ;   in Loop: Header=BB7_450 Depth=1
	s_delay_alu instid0(SALU_CYCLE_1)
	s_or_b32 exec_lo, exec_lo, s1
	s_clause 0x1
	global_load_b64 v[30:31], v5, s[2:3] offset:40
	global_load_b128 v[24:27], v5, s[2:3]
	v_readfirstlane_b32 s10, v28
	v_readfirstlane_b32 s11, v29
	s_mov_b32 s1, exec_lo
	s_wait_loadcnt 0x1
	v_and_b32_e32 v30, s10, v30
	v_and_b32_e32 v31, s11, v31
	s_delay_alu instid0(VALU_DEP_1) | instskip(SKIP_1) | instid1(VALU_DEP_1)
	v_mul_u64_e32 v[28:29], 24, v[30:31]
	s_wait_loadcnt 0x0
	v_add_nc_u64_e32 v[28:29], v[24:25], v[28:29]
	s_wait_xcnt 0x0
	s_and_saveexec_b32 s12, s0
	s_cbranch_execz .LBB7_507
; %bb.506:                              ;   in Loop: Header=BB7_450 Depth=1
	v_mov_b32_e32 v4, s1
	global_store_b128 v[28:29], v[4:7], off offset:8
.LBB7_507:                              ;   in Loop: Header=BB7_450 Depth=1
	s_wait_xcnt 0x0
	s_or_b32 exec_lo, exec_lo, s12
	v_cmp_gt_u64_e64 s1, s[6:7], 56
	v_lshlrev_b64_e32 v[30:31], 12, v[30:31]
	v_and_b32_e32 v1, 0xffffff1f, v8
	s_and_b32 s1, s1, exec_lo
	s_delay_alu instid0(VALU_DEP_2) | instskip(SKIP_4) | instid1(VALU_DEP_2)
	v_add_nc_u64_e32 v[26:27], v[26:27], v[30:31]
	s_cselect_b32 s1, 0, 2
	s_lshl_b32 s12, s8, 2
	v_or_b32_e32 v1, s1, v1
	s_add_co_i32 s1, s12, 28
	v_readfirstlane_b32 s12, v26
	s_delay_alu instid0(VALU_DEP_3) | instskip(NEXT) | instid1(VALU_DEP_3)
	v_readfirstlane_b32 s13, v27
	v_and_or_b32 v8, 0x1e0, s1, v1
	s_clause 0x3
	global_store_b128 v0, v[8:11], s[12:13]
	global_store_b128 v0, v[12:15], s[12:13] offset:16
	global_store_b128 v0, v[16:19], s[12:13] offset:32
	global_store_b128 v0, v[20:23], s[12:13] offset:48
	s_wait_xcnt 0x0
	s_and_saveexec_b32 s1, s0
	s_cbranch_execz .LBB7_515
; %bb.508:                              ;   in Loop: Header=BB7_450 Depth=1
	s_clause 0x1
	global_load_b64 v[16:17], v5, s[2:3] offset:32 scope:SCOPE_SYS
	global_load_b64 v[8:9], v5, s[2:3] offset:40
	s_mov_b32 s12, exec_lo
	v_dual_mov_b32 v14, s10 :: v_dual_mov_b32 v15, s11
	s_wait_loadcnt 0x0
	v_and_b32_e32 v9, s11, v9
	v_and_b32_e32 v8, s10, v8
	s_delay_alu instid0(VALU_DEP_1) | instskip(NEXT) | instid1(VALU_DEP_1)
	v_mul_u64_e32 v[8:9], 24, v[8:9]
	v_add_nc_u64_e32 v[12:13], v[24:25], v[8:9]
	global_store_b64 v[12:13], v[16:17], off
	global_wb scope:SCOPE_SYS
	s_wait_storecnt 0x0
	s_wait_xcnt 0x0
	global_atomic_cmpswap_b64 v[10:11], v5, v[14:17], s[2:3] offset:32 th:TH_ATOMIC_RETURN scope:SCOPE_SYS
	s_wait_loadcnt 0x0
	v_cmpx_ne_u64_e64 v[10:11], v[16:17]
	s_cbranch_execz .LBB7_511
; %bb.509:                              ;   in Loop: Header=BB7_450 Depth=1
	s_mov_b32 s13, 0
.LBB7_510:                              ;   Parent Loop BB7_450 Depth=1
                                        ; =>  This Inner Loop Header: Depth=2
	v_dual_mov_b32 v8, s10 :: v_dual_mov_b32 v9, s11
	s_sleep 1
	global_store_b64 v[12:13], v[10:11], off
	global_wb scope:SCOPE_SYS
	s_wait_storecnt 0x0
	s_wait_xcnt 0x0
	global_atomic_cmpswap_b64 v[8:9], v5, v[8:11], s[2:3] offset:32 th:TH_ATOMIC_RETURN scope:SCOPE_SYS
	s_wait_loadcnt 0x0
	v_cmp_eq_u64_e32 vcc_lo, v[8:9], v[10:11]
	v_mov_b64_e32 v[10:11], v[8:9]
	s_or_b32 s13, vcc_lo, s13
	s_delay_alu instid0(SALU_CYCLE_1)
	s_and_not1_b32 exec_lo, exec_lo, s13
	s_cbranch_execnz .LBB7_510
.LBB7_511:                              ;   in Loop: Header=BB7_450 Depth=1
	s_or_b32 exec_lo, exec_lo, s12
	global_load_b64 v[8:9], v5, s[2:3] offset:16
	s_mov_b32 s13, exec_lo
	s_mov_b32 s12, exec_lo
	v_mbcnt_lo_u32_b32 v1, s13, 0
	s_wait_xcnt 0x0
	s_delay_alu instid0(VALU_DEP_1)
	v_cmpx_eq_u32_e32 0, v1
	s_cbranch_execz .LBB7_513
; %bb.512:                              ;   in Loop: Header=BB7_450 Depth=1
	s_bcnt1_i32_b32 s13, s13
	s_delay_alu instid0(SALU_CYCLE_1)
	v_mov_b32_e32 v4, s13
	global_wb scope:SCOPE_SYS
	s_wait_loadcnt 0x0
	s_wait_storecnt 0x0
	global_atomic_add_u64 v[8:9], v[4:5], off offset:8 scope:SCOPE_SYS
.LBB7_513:                              ;   in Loop: Header=BB7_450 Depth=1
	s_wait_xcnt 0x0
	s_or_b32 exec_lo, exec_lo, s12
	s_wait_loadcnt 0x0
	global_load_b64 v[10:11], v[8:9], off offset:16
	s_wait_loadcnt 0x0
	v_cmp_eq_u64_e32 vcc_lo, 0, v[10:11]
	s_cbranch_vccnz .LBB7_515
; %bb.514:                              ;   in Loop: Header=BB7_450 Depth=1
	global_load_b32 v4, v[8:9], off offset:24
	s_wait_loadcnt 0x0
	v_readfirstlane_b32 s12, v4
	global_wb scope:SCOPE_SYS
	s_wait_storecnt 0x0
	s_wait_xcnt 0x0
	global_store_b64 v[10:11], v[4:5], off scope:SCOPE_SYS
	s_and_b32 m0, s12, 0xffffff
	s_sendmsg sendmsg(MSG_INTERRUPT)
.LBB7_515:                              ;   in Loop: Header=BB7_450 Depth=1
	s_wait_xcnt 0x0
	s_or_b32 exec_lo, exec_lo, s1
	v_mov_b32_e32 v1, v5
	s_delay_alu instid0(VALU_DEP_1)
	v_add_nc_u64_e32 v[8:9], v[26:27], v[0:1]
	s_branch .LBB7_519
.LBB7_516:                              ;   in Loop: Header=BB7_519 Depth=2
	s_wait_xcnt 0x0
	s_or_b32 exec_lo, exec_lo, s1
	s_delay_alu instid0(VALU_DEP_1)
	v_readfirstlane_b32 s1, v1
	s_cmp_eq_u32 s1, 0
	s_cbranch_scc1 .LBB7_518
; %bb.517:                              ;   in Loop: Header=BB7_519 Depth=2
	s_sleep 1
	s_cbranch_execnz .LBB7_519
	s_branch .LBB7_521
.LBB7_518:                              ;   in Loop: Header=BB7_450 Depth=1
	s_branch .LBB7_521
.LBB7_519:                              ;   Parent Loop BB7_450 Depth=1
                                        ; =>  This Inner Loop Header: Depth=2
	v_mov_b32_e32 v1, 1
	s_and_saveexec_b32 s1, s0
	s_cbranch_execz .LBB7_516
; %bb.520:                              ;   in Loop: Header=BB7_519 Depth=2
	global_load_b32 v1, v[28:29], off offset:20 scope:SCOPE_SYS
	s_wait_loadcnt 0x0
	global_inv scope:SCOPE_SYS
	v_and_b32_e32 v1, 1, v1
	s_branch .LBB7_516
.LBB7_521:                              ;   in Loop: Header=BB7_450 Depth=1
	global_load_b128 v[8:11], v[8:9], off
	s_wait_xcnt 0x0
	s_and_saveexec_b32 s12, s0
	s_cbranch_execz .LBB7_449
; %bb.522:                              ;   in Loop: Header=BB7_450 Depth=1
	s_wait_loadcnt 0x0
	s_clause 0x2
	global_load_b64 v[10:11], v5, s[2:3] offset:40
	global_load_b64 v[18:19], v5, s[2:3] offset:24 scope:SCOPE_SYS
	global_load_b64 v[12:13], v5, s[2:3]
	s_wait_loadcnt 0x2
	v_readfirstlane_b32 s14, v10
	v_readfirstlane_b32 s15, v11
	s_add_nc_u64 s[0:1], s[14:15], 1
	s_delay_alu instid0(SALU_CYCLE_1) | instskip(NEXT) | instid1(SALU_CYCLE_1)
	s_add_nc_u64 s[10:11], s[0:1], s[10:11]
	s_cmp_eq_u64 s[10:11], 0
	s_cselect_b32 s1, s1, s11
	s_cselect_b32 s0, s0, s10
	s_delay_alu instid0(SALU_CYCLE_1) | instskip(SKIP_1) | instid1(SALU_CYCLE_1)
	v_dual_mov_b32 v17, s1 :: v_dual_mov_b32 v16, s0
	s_and_b64 s[10:11], s[0:1], s[14:15]
	s_mul_u64 s[10:11], s[10:11], 24
	s_wait_loadcnt 0x0
	v_add_nc_u64_e32 v[14:15], s[10:11], v[12:13]
	global_store_b64 v[14:15], v[18:19], off
	global_wb scope:SCOPE_SYS
	s_wait_storecnt 0x0
	s_wait_xcnt 0x0
	global_atomic_cmpswap_b64 v[12:13], v5, v[16:19], s[2:3] offset:24 th:TH_ATOMIC_RETURN scope:SCOPE_SYS
	s_wait_loadcnt 0x0
	v_cmp_ne_u64_e32 vcc_lo, v[12:13], v[18:19]
	s_and_b32 exec_lo, exec_lo, vcc_lo
	s_cbranch_execz .LBB7_449
; %bb.523:                              ;   in Loop: Header=BB7_450 Depth=1
	s_mov_b32 s10, 0
.LBB7_524:                              ;   Parent Loop BB7_450 Depth=1
                                        ; =>  This Inner Loop Header: Depth=2
	v_dual_mov_b32 v10, s0 :: v_dual_mov_b32 v11, s1
	s_sleep 1
	global_store_b64 v[14:15], v[12:13], off
	global_wb scope:SCOPE_SYS
	s_wait_storecnt 0x0
	s_wait_xcnt 0x0
	global_atomic_cmpswap_b64 v[10:11], v5, v[10:13], s[2:3] offset:24 th:TH_ATOMIC_RETURN scope:SCOPE_SYS
	s_wait_loadcnt 0x0
	v_cmp_eq_u64_e32 vcc_lo, v[10:11], v[12:13]
	v_mov_b64_e32 v[12:13], v[10:11]
	s_or_b32 s10, vcc_lo, s10
	s_delay_alu instid0(SALU_CYCLE_1)
	s_and_not1_b32 exec_lo, exec_lo, s10
	s_cbranch_execnz .LBB7_524
	s_branch .LBB7_449
.LBB7_525:
	global_load_b64 v[2:3], v[2:3], off
	s_wait_xcnt 0x0
	s_and_saveexec_b32 s6, s0
	s_cbranch_execz .LBB7_529
; %bb.526:
	v_mov_b32_e32 v1, 0
	s_clause 0x2
	global_load_b64 v[4:5], v1, s[2:3] offset:40
	global_load_b64 v[12:13], v1, s[2:3] offset:24 scope:SCOPE_SYS
	global_load_b64 v[6:7], v1, s[2:3]
	s_wait_loadcnt 0x2
	v_readfirstlane_b32 s8, v4
	v_readfirstlane_b32 s9, v5
	s_add_nc_u64 s[0:1], s[8:9], 1
	s_delay_alu instid0(SALU_CYCLE_1) | instskip(NEXT) | instid1(SALU_CYCLE_1)
	s_add_nc_u64 s[4:5], s[0:1], s[4:5]
	s_cmp_eq_u64 s[4:5], 0
	s_cselect_b32 s1, s1, s5
	s_cselect_b32 s0, s0, s4
	v_mov_b32_e32 v11, s1
	s_and_b64 s[4:5], s[0:1], s[8:9]
	v_mov_b32_e32 v10, s0
	s_mul_u64 s[4:5], s[4:5], 24
	s_wait_loadcnt 0x0
	v_add_nc_u64_e32 v[8:9], s[4:5], v[6:7]
	global_store_b64 v[8:9], v[12:13], off
	global_wb scope:SCOPE_SYS
	s_wait_storecnt 0x0
	s_wait_xcnt 0x0
	global_atomic_cmpswap_b64 v[6:7], v1, v[10:13], s[2:3] offset:24 th:TH_ATOMIC_RETURN scope:SCOPE_SYS
	s_wait_loadcnt 0x0
	v_cmp_ne_u64_e32 vcc_lo, v[6:7], v[12:13]
	s_and_b32 exec_lo, exec_lo, vcc_lo
	s_cbranch_execz .LBB7_529
; %bb.527:
	s_mov_b32 s4, 0
.LBB7_528:                              ; =>This Inner Loop Header: Depth=1
	v_dual_mov_b32 v4, s0 :: v_dual_mov_b32 v5, s1
	s_sleep 1
	global_store_b64 v[8:9], v[6:7], off
	global_wb scope:SCOPE_SYS
	s_wait_storecnt 0x0
	s_wait_xcnt 0x0
	global_atomic_cmpswap_b64 v[4:5], v1, v[4:7], s[2:3] offset:24 th:TH_ATOMIC_RETURN scope:SCOPE_SYS
	s_wait_loadcnt 0x0
	v_cmp_eq_u64_e32 vcc_lo, v[4:5], v[6:7]
	v_mov_b64_e32 v[6:7], v[4:5]
	s_or_b32 s4, vcc_lo, s4
	s_delay_alu instid0(SALU_CYCLE_1)
	s_and_not1_b32 exec_lo, exec_lo, s4
	s_cbranch_execnz .LBB7_528
.LBB7_529:
	s_or_b32 exec_lo, exec_lo, s6
	s_get_pc_i64 s[4:5]
	s_add_nc_u64 s[4:5], s[4:5], .str.28@rel64+4
	s_delay_alu instid0(SALU_CYCLE_1)
	s_cmp_lg_u64 s[4:5], 0
	s_cbranch_scc0 .LBB7_723
; %bb.530:
	v_mov_b64_e32 v[6:7], 0x100000002
	s_wait_loadcnt 0x0
	v_dual_mov_b32 v9, v3 :: v_dual_bitop2_b32 v8, -3, v2 bitop3:0x40
	v_mov_b32_e32 v5, 0
	s_mov_b64 s[6:7], 35
	s_branch .LBB7_532
.LBB7_531:                              ;   in Loop: Header=BB7_532 Depth=1
	s_or_b32 exec_lo, exec_lo, s12
	s_sub_nc_u64 s[6:7], s[6:7], s[8:9]
	s_add_nc_u64 s[4:5], s[4:5], s[8:9]
	s_cmp_lg_u64 s[6:7], 0
	s_cbranch_scc0 .LBB7_690
.LBB7_532:                              ; =>This Loop Header: Depth=1
                                        ;     Child Loop BB7_535 Depth 2
                                        ;     Child Loop BB7_542 Depth 2
                                        ;     Child Loop BB7_549 Depth 2
                                        ;     Child Loop BB7_556 Depth 2
                                        ;     Child Loop BB7_563 Depth 2
                                        ;     Child Loop BB7_570 Depth 2
                                        ;     Child Loop BB7_577 Depth 2
                                        ;     Child Loop BB7_584 Depth 2
                                        ;     Child Loop BB7_592 Depth 2
                                        ;     Child Loop BB7_601 Depth 2
                                        ;     Child Loop BB7_606 Depth 2
	s_wait_loadcnt 0x0
	v_min_u64 v[10:11], s[6:7], 56
	v_cmp_gt_u64_e64 s0, s[6:7], 7
	s_and_b32 vcc_lo, exec_lo, s0
	v_readfirstlane_b32 s8, v10
	v_readfirstlane_b32 s9, v11
	s_cbranch_vccnz .LBB7_537
; %bb.533:                              ;   in Loop: Header=BB7_532 Depth=1
	v_mov_b64_e32 v[10:11], 0
	s_cmp_eq_u64 s[6:7], 0
	s_cbranch_scc1 .LBB7_536
; %bb.534:                              ;   in Loop: Header=BB7_532 Depth=1
	s_mov_b64 s[0:1], 0
	s_mov_b64 s[10:11], 0
.LBB7_535:                              ;   Parent Loop BB7_532 Depth=1
                                        ; =>  This Inner Loop Header: Depth=2
	s_wait_xcnt 0x0
	s_add_nc_u64 s[12:13], s[4:5], s[10:11]
	s_add_nc_u64 s[10:11], s[10:11], 1
	global_load_u8 v1, v5, s[12:13]
	s_cmp_lg_u32 s8, s10
	s_wait_loadcnt 0x0
	v_and_b32_e32 v4, 0xffff, v1
	s_delay_alu instid0(VALU_DEP_1) | instskip(SKIP_1) | instid1(VALU_DEP_1)
	v_lshlrev_b64_e32 v[12:13], s0, v[4:5]
	s_add_nc_u64 s[0:1], s[0:1], 8
	v_or_b32_e32 v10, v12, v10
	s_delay_alu instid0(VALU_DEP_2)
	v_or_b32_e32 v11, v13, v11
	s_cbranch_scc1 .LBB7_535
.LBB7_536:                              ;   in Loop: Header=BB7_532 Depth=1
	s_mov_b64 s[10:11], s[4:5]
	s_mov_b32 s14, 0
	s_cbranch_execz .LBB7_538
	s_branch .LBB7_539
.LBB7_537:                              ;   in Loop: Header=BB7_532 Depth=1
	s_add_nc_u64 s[10:11], s[4:5], 8
	s_mov_b32 s14, 0
.LBB7_538:                              ;   in Loop: Header=BB7_532 Depth=1
	global_load_b64 v[10:11], v5, s[4:5]
	s_add_co_i32 s14, s8, -8
.LBB7_539:                              ;   in Loop: Header=BB7_532 Depth=1
	s_delay_alu instid0(SALU_CYCLE_1)
	s_cmp_gt_u32 s14, 7
	s_cbranch_scc1 .LBB7_544
; %bb.540:                              ;   in Loop: Header=BB7_532 Depth=1
	v_mov_b64_e32 v[12:13], 0
	s_cmp_eq_u32 s14, 0
	s_cbranch_scc1 .LBB7_543
; %bb.541:                              ;   in Loop: Header=BB7_532 Depth=1
	s_mov_b64 s[0:1], 0
	s_wait_xcnt 0x0
	s_mov_b64 s[12:13], 0
.LBB7_542:                              ;   Parent Loop BB7_532 Depth=1
                                        ; =>  This Inner Loop Header: Depth=2
	s_wait_xcnt 0x0
	s_add_nc_u64 s[30:31], s[10:11], s[12:13]
	s_add_nc_u64 s[12:13], s[12:13], 1
	global_load_u8 v1, v5, s[30:31]
	s_cmp_lg_u32 s14, s12
	s_wait_loadcnt 0x0
	v_and_b32_e32 v4, 0xffff, v1
	s_delay_alu instid0(VALU_DEP_1) | instskip(SKIP_1) | instid1(VALU_DEP_1)
	v_lshlrev_b64_e32 v[14:15], s0, v[4:5]
	s_add_nc_u64 s[0:1], s[0:1], 8
	v_or_b32_e32 v12, v14, v12
	s_delay_alu instid0(VALU_DEP_2)
	v_or_b32_e32 v13, v15, v13
	s_cbranch_scc1 .LBB7_542
.LBB7_543:                              ;   in Loop: Header=BB7_532 Depth=1
	s_wait_xcnt 0x0
	s_mov_b64 s[0:1], s[10:11]
	s_mov_b32 s15, 0
	s_cbranch_execz .LBB7_545
	s_branch .LBB7_546
.LBB7_544:                              ;   in Loop: Header=BB7_532 Depth=1
	s_add_nc_u64 s[0:1], s[10:11], 8
	s_wait_xcnt 0x0
                                        ; implicit-def: $vgpr12_vgpr13
	s_mov_b32 s15, 0
.LBB7_545:                              ;   in Loop: Header=BB7_532 Depth=1
	global_load_b64 v[12:13], v5, s[10:11]
	s_add_co_i32 s15, s14, -8
.LBB7_546:                              ;   in Loop: Header=BB7_532 Depth=1
	s_delay_alu instid0(SALU_CYCLE_1)
	s_cmp_gt_u32 s15, 7
	s_cbranch_scc1 .LBB7_551
; %bb.547:                              ;   in Loop: Header=BB7_532 Depth=1
	v_mov_b64_e32 v[14:15], 0
	s_cmp_eq_u32 s15, 0
	s_cbranch_scc1 .LBB7_550
; %bb.548:                              ;   in Loop: Header=BB7_532 Depth=1
	s_wait_xcnt 0x0
	s_mov_b64 s[10:11], 0
	s_mov_b64 s[12:13], 0
.LBB7_549:                              ;   Parent Loop BB7_532 Depth=1
                                        ; =>  This Inner Loop Header: Depth=2
	s_wait_xcnt 0x0
	s_add_nc_u64 s[30:31], s[0:1], s[12:13]
	s_add_nc_u64 s[12:13], s[12:13], 1
	global_load_u8 v1, v5, s[30:31]
	s_cmp_lg_u32 s15, s12
	s_wait_loadcnt 0x0
	v_and_b32_e32 v4, 0xffff, v1
	s_delay_alu instid0(VALU_DEP_1) | instskip(SKIP_1) | instid1(VALU_DEP_1)
	v_lshlrev_b64_e32 v[16:17], s10, v[4:5]
	s_add_nc_u64 s[10:11], s[10:11], 8
	v_or_b32_e32 v14, v16, v14
	s_delay_alu instid0(VALU_DEP_2)
	v_or_b32_e32 v15, v17, v15
	s_cbranch_scc1 .LBB7_549
.LBB7_550:                              ;   in Loop: Header=BB7_532 Depth=1
	s_wait_xcnt 0x0
	s_mov_b64 s[10:11], s[0:1]
	s_mov_b32 s14, 0
	s_cbranch_execz .LBB7_552
	s_branch .LBB7_553
.LBB7_551:                              ;   in Loop: Header=BB7_532 Depth=1
	s_wait_xcnt 0x0
	s_add_nc_u64 s[10:11], s[0:1], 8
	s_mov_b32 s14, 0
.LBB7_552:                              ;   in Loop: Header=BB7_532 Depth=1
	global_load_b64 v[14:15], v5, s[0:1]
	s_add_co_i32 s14, s15, -8
.LBB7_553:                              ;   in Loop: Header=BB7_532 Depth=1
	s_delay_alu instid0(SALU_CYCLE_1)
	s_cmp_gt_u32 s14, 7
	s_cbranch_scc1 .LBB7_558
; %bb.554:                              ;   in Loop: Header=BB7_532 Depth=1
	v_mov_b64_e32 v[16:17], 0
	s_cmp_eq_u32 s14, 0
	s_cbranch_scc1 .LBB7_557
; %bb.555:                              ;   in Loop: Header=BB7_532 Depth=1
	s_wait_xcnt 0x0
	s_mov_b64 s[0:1], 0
	s_mov_b64 s[12:13], 0
.LBB7_556:                              ;   Parent Loop BB7_532 Depth=1
                                        ; =>  This Inner Loop Header: Depth=2
	s_wait_xcnt 0x0
	s_add_nc_u64 s[30:31], s[10:11], s[12:13]
	s_add_nc_u64 s[12:13], s[12:13], 1
	global_load_u8 v1, v5, s[30:31]
	s_cmp_lg_u32 s14, s12
	s_wait_loadcnt 0x0
	v_and_b32_e32 v4, 0xffff, v1
	s_delay_alu instid0(VALU_DEP_1) | instskip(SKIP_1) | instid1(VALU_DEP_1)
	v_lshlrev_b64_e32 v[18:19], s0, v[4:5]
	s_add_nc_u64 s[0:1], s[0:1], 8
	v_or_b32_e32 v16, v18, v16
	s_delay_alu instid0(VALU_DEP_2)
	v_or_b32_e32 v17, v19, v17
	s_cbranch_scc1 .LBB7_556
.LBB7_557:                              ;   in Loop: Header=BB7_532 Depth=1
	s_wait_xcnt 0x0
	s_mov_b64 s[0:1], s[10:11]
	s_mov_b32 s15, 0
	s_cbranch_execz .LBB7_559
	s_branch .LBB7_560
.LBB7_558:                              ;   in Loop: Header=BB7_532 Depth=1
	s_wait_xcnt 0x0
	s_add_nc_u64 s[0:1], s[10:11], 8
                                        ; implicit-def: $vgpr16_vgpr17
	s_mov_b32 s15, 0
.LBB7_559:                              ;   in Loop: Header=BB7_532 Depth=1
	global_load_b64 v[16:17], v5, s[10:11]
	s_add_co_i32 s15, s14, -8
.LBB7_560:                              ;   in Loop: Header=BB7_532 Depth=1
	s_delay_alu instid0(SALU_CYCLE_1)
	s_cmp_gt_u32 s15, 7
	s_cbranch_scc1 .LBB7_565
; %bb.561:                              ;   in Loop: Header=BB7_532 Depth=1
	v_mov_b64_e32 v[18:19], 0
	s_cmp_eq_u32 s15, 0
	s_cbranch_scc1 .LBB7_564
; %bb.562:                              ;   in Loop: Header=BB7_532 Depth=1
	s_wait_xcnt 0x0
	s_mov_b64 s[10:11], 0
	s_mov_b64 s[12:13], 0
.LBB7_563:                              ;   Parent Loop BB7_532 Depth=1
                                        ; =>  This Inner Loop Header: Depth=2
	s_wait_xcnt 0x0
	s_add_nc_u64 s[30:31], s[0:1], s[12:13]
	s_add_nc_u64 s[12:13], s[12:13], 1
	global_load_u8 v1, v5, s[30:31]
	s_cmp_lg_u32 s15, s12
	s_wait_loadcnt 0x0
	v_and_b32_e32 v4, 0xffff, v1
	s_delay_alu instid0(VALU_DEP_1) | instskip(SKIP_1) | instid1(VALU_DEP_1)
	v_lshlrev_b64_e32 v[20:21], s10, v[4:5]
	s_add_nc_u64 s[10:11], s[10:11], 8
	v_or_b32_e32 v18, v20, v18
	s_delay_alu instid0(VALU_DEP_2)
	v_or_b32_e32 v19, v21, v19
	s_cbranch_scc1 .LBB7_563
.LBB7_564:                              ;   in Loop: Header=BB7_532 Depth=1
	s_wait_xcnt 0x0
	s_mov_b64 s[10:11], s[0:1]
	s_mov_b32 s14, 0
	s_cbranch_execz .LBB7_566
	s_branch .LBB7_567
.LBB7_565:                              ;   in Loop: Header=BB7_532 Depth=1
	s_wait_xcnt 0x0
	s_add_nc_u64 s[10:11], s[0:1], 8
	s_mov_b32 s14, 0
.LBB7_566:                              ;   in Loop: Header=BB7_532 Depth=1
	global_load_b64 v[18:19], v5, s[0:1]
	s_add_co_i32 s14, s15, -8
.LBB7_567:                              ;   in Loop: Header=BB7_532 Depth=1
	s_delay_alu instid0(SALU_CYCLE_1)
	s_cmp_gt_u32 s14, 7
	s_cbranch_scc1 .LBB7_572
; %bb.568:                              ;   in Loop: Header=BB7_532 Depth=1
	v_mov_b64_e32 v[20:21], 0
	s_cmp_eq_u32 s14, 0
	s_cbranch_scc1 .LBB7_571
; %bb.569:                              ;   in Loop: Header=BB7_532 Depth=1
	s_wait_xcnt 0x0
	s_mov_b64 s[0:1], 0
	s_mov_b64 s[12:13], 0
.LBB7_570:                              ;   Parent Loop BB7_532 Depth=1
                                        ; =>  This Inner Loop Header: Depth=2
	s_wait_xcnt 0x0
	s_add_nc_u64 s[30:31], s[10:11], s[12:13]
	s_add_nc_u64 s[12:13], s[12:13], 1
	global_load_u8 v1, v5, s[30:31]
	s_cmp_lg_u32 s14, s12
	s_wait_loadcnt 0x0
	v_and_b32_e32 v4, 0xffff, v1
	s_delay_alu instid0(VALU_DEP_1) | instskip(SKIP_1) | instid1(VALU_DEP_1)
	v_lshlrev_b64_e32 v[22:23], s0, v[4:5]
	s_add_nc_u64 s[0:1], s[0:1], 8
	v_or_b32_e32 v20, v22, v20
	s_delay_alu instid0(VALU_DEP_2)
	v_or_b32_e32 v21, v23, v21
	s_cbranch_scc1 .LBB7_570
.LBB7_571:                              ;   in Loop: Header=BB7_532 Depth=1
	s_wait_xcnt 0x0
	s_mov_b64 s[0:1], s[10:11]
	s_mov_b32 s15, 0
	s_cbranch_execz .LBB7_573
	s_branch .LBB7_574
.LBB7_572:                              ;   in Loop: Header=BB7_532 Depth=1
	s_wait_xcnt 0x0
	s_add_nc_u64 s[0:1], s[10:11], 8
                                        ; implicit-def: $vgpr20_vgpr21
	s_mov_b32 s15, 0
.LBB7_573:                              ;   in Loop: Header=BB7_532 Depth=1
	global_load_b64 v[20:21], v5, s[10:11]
	s_add_co_i32 s15, s14, -8
.LBB7_574:                              ;   in Loop: Header=BB7_532 Depth=1
	s_delay_alu instid0(SALU_CYCLE_1)
	s_cmp_gt_u32 s15, 7
	s_cbranch_scc1 .LBB7_579
; %bb.575:                              ;   in Loop: Header=BB7_532 Depth=1
	v_mov_b64_e32 v[22:23], 0
	s_cmp_eq_u32 s15, 0
	s_cbranch_scc1 .LBB7_578
; %bb.576:                              ;   in Loop: Header=BB7_532 Depth=1
	s_wait_xcnt 0x0
	s_mov_b64 s[10:11], 0
	s_mov_b64 s[12:13], s[0:1]
.LBB7_577:                              ;   Parent Loop BB7_532 Depth=1
                                        ; =>  This Inner Loop Header: Depth=2
	global_load_u8 v1, v5, s[12:13]
	s_add_co_i32 s15, s15, -1
	s_wait_xcnt 0x0
	s_add_nc_u64 s[12:13], s[12:13], 1
	s_cmp_lg_u32 s15, 0
	s_wait_loadcnt 0x0
	v_and_b32_e32 v4, 0xffff, v1
	s_delay_alu instid0(VALU_DEP_1) | instskip(SKIP_1) | instid1(VALU_DEP_1)
	v_lshlrev_b64_e32 v[24:25], s10, v[4:5]
	s_add_nc_u64 s[10:11], s[10:11], 8
	v_or_b32_e32 v22, v24, v22
	s_delay_alu instid0(VALU_DEP_2)
	v_or_b32_e32 v23, v25, v23
	s_cbranch_scc1 .LBB7_577
.LBB7_578:                              ;   in Loop: Header=BB7_532 Depth=1
	s_wait_xcnt 0x0
	s_cbranch_execz .LBB7_580
	s_branch .LBB7_581
.LBB7_579:                              ;   in Loop: Header=BB7_532 Depth=1
	s_wait_xcnt 0x0
.LBB7_580:                              ;   in Loop: Header=BB7_532 Depth=1
	global_load_b64 v[22:23], v5, s[0:1]
.LBB7_581:                              ;   in Loop: Header=BB7_532 Depth=1
	s_wait_xcnt 0x0
	v_readfirstlane_b32 s0, v32
	v_mov_b64_e32 v[28:29], 0
	s_delay_alu instid0(VALU_DEP_2)
	v_cmp_eq_u32_e64 s0, s0, v32
	s_and_saveexec_b32 s1, s0
	s_cbranch_execz .LBB7_587
; %bb.582:                              ;   in Loop: Header=BB7_532 Depth=1
	global_load_b64 v[26:27], v5, s[2:3] offset:24 scope:SCOPE_SYS
	s_wait_loadcnt 0x0
	global_inv scope:SCOPE_SYS
	s_clause 0x1
	global_load_b64 v[24:25], v5, s[2:3] offset:40
	global_load_b64 v[28:29], v5, s[2:3]
	s_mov_b32 s10, exec_lo
	s_wait_loadcnt 0x1
	v_and_b32_e32 v24, v24, v26
	v_and_b32_e32 v25, v25, v27
	s_delay_alu instid0(VALU_DEP_1) | instskip(SKIP_1) | instid1(VALU_DEP_1)
	v_mul_u64_e32 v[24:25], 24, v[24:25]
	s_wait_loadcnt 0x0
	v_add_nc_u64_e32 v[24:25], v[28:29], v[24:25]
	global_load_b64 v[24:25], v[24:25], off scope:SCOPE_SYS
	s_wait_xcnt 0x0
	s_wait_loadcnt 0x0
	global_atomic_cmpswap_b64 v[28:29], v5, v[24:27], s[2:3] offset:24 th:TH_ATOMIC_RETURN scope:SCOPE_SYS
	s_wait_loadcnt 0x0
	global_inv scope:SCOPE_SYS
	s_wait_xcnt 0x0
	v_cmpx_ne_u64_e64 v[28:29], v[26:27]
	s_cbranch_execz .LBB7_586
; %bb.583:                              ;   in Loop: Header=BB7_532 Depth=1
	s_mov_b32 s11, 0
.LBB7_584:                              ;   Parent Loop BB7_532 Depth=1
                                        ; =>  This Inner Loop Header: Depth=2
	s_sleep 1
	s_clause 0x1
	global_load_b64 v[24:25], v5, s[2:3] offset:40
	global_load_b64 v[30:31], v5, s[2:3]
	v_mov_b64_e32 v[26:27], v[28:29]
	s_wait_loadcnt 0x1
	s_delay_alu instid0(VALU_DEP_1) | instskip(SKIP_1) | instid1(VALU_DEP_1)
	v_and_b32_e32 v1, v24, v26
	s_wait_loadcnt 0x0
	v_mad_nc_u64_u32 v[28:29], v1, 24, v[30:31]
	s_delay_alu instid0(VALU_DEP_3) | instskip(NEXT) | instid1(VALU_DEP_1)
	v_and_b32_e32 v1, v25, v27
	v_mad_u32 v29, v1, 24, v29
	global_load_b64 v[24:25], v[28:29], off scope:SCOPE_SYS
	s_wait_xcnt 0x0
	s_wait_loadcnt 0x0
	global_atomic_cmpswap_b64 v[28:29], v5, v[24:27], s[2:3] offset:24 th:TH_ATOMIC_RETURN scope:SCOPE_SYS
	s_wait_loadcnt 0x0
	global_inv scope:SCOPE_SYS
	v_cmp_eq_u64_e32 vcc_lo, v[28:29], v[26:27]
	s_or_b32 s11, vcc_lo, s11
	s_wait_xcnt 0x0
	s_and_not1_b32 exec_lo, exec_lo, s11
	s_cbranch_execnz .LBB7_584
; %bb.585:                              ;   in Loop: Header=BB7_532 Depth=1
	s_or_b32 exec_lo, exec_lo, s11
.LBB7_586:                              ;   in Loop: Header=BB7_532 Depth=1
	s_delay_alu instid0(SALU_CYCLE_1)
	s_or_b32 exec_lo, exec_lo, s10
.LBB7_587:                              ;   in Loop: Header=BB7_532 Depth=1
	s_delay_alu instid0(SALU_CYCLE_1)
	s_or_b32 exec_lo, exec_lo, s1
	s_clause 0x1
	global_load_b64 v[30:31], v5, s[2:3] offset:40
	global_load_b128 v[24:27], v5, s[2:3]
	v_readfirstlane_b32 s10, v28
	v_readfirstlane_b32 s11, v29
	s_mov_b32 s1, exec_lo
	s_wait_loadcnt 0x1
	v_and_b32_e32 v30, s10, v30
	v_and_b32_e32 v31, s11, v31
	s_delay_alu instid0(VALU_DEP_1) | instskip(SKIP_1) | instid1(VALU_DEP_1)
	v_mul_u64_e32 v[28:29], 24, v[30:31]
	s_wait_loadcnt 0x0
	v_add_nc_u64_e32 v[28:29], v[24:25], v[28:29]
	s_wait_xcnt 0x0
	s_and_saveexec_b32 s12, s0
	s_cbranch_execz .LBB7_589
; %bb.588:                              ;   in Loop: Header=BB7_532 Depth=1
	v_mov_b32_e32 v4, s1
	global_store_b128 v[28:29], v[4:7], off offset:8
.LBB7_589:                              ;   in Loop: Header=BB7_532 Depth=1
	s_wait_xcnt 0x0
	s_or_b32 exec_lo, exec_lo, s12
	v_cmp_gt_u64_e64 s1, s[6:7], 56
	v_lshlrev_b64_e32 v[30:31], 12, v[30:31]
	v_and_b32_e32 v1, 0xffffff1f, v8
	s_and_b32 s1, s1, exec_lo
	s_delay_alu instid0(VALU_DEP_2) | instskip(SKIP_4) | instid1(VALU_DEP_2)
	v_add_nc_u64_e32 v[26:27], v[26:27], v[30:31]
	s_cselect_b32 s1, 0, 2
	s_lshl_b32 s12, s8, 2
	v_or_b32_e32 v1, s1, v1
	s_add_co_i32 s1, s12, 28
	v_readfirstlane_b32 s12, v26
	s_delay_alu instid0(VALU_DEP_3) | instskip(NEXT) | instid1(VALU_DEP_3)
	v_readfirstlane_b32 s13, v27
	v_and_or_b32 v8, 0x1e0, s1, v1
	s_clause 0x3
	global_store_b128 v0, v[8:11], s[12:13]
	global_store_b128 v0, v[12:15], s[12:13] offset:16
	global_store_b128 v0, v[16:19], s[12:13] offset:32
	;; [unrolled: 1-line block ×3, first 2 shown]
	s_wait_xcnt 0x0
	s_and_saveexec_b32 s1, s0
	s_cbranch_execz .LBB7_597
; %bb.590:                              ;   in Loop: Header=BB7_532 Depth=1
	s_clause 0x1
	global_load_b64 v[16:17], v5, s[2:3] offset:32 scope:SCOPE_SYS
	global_load_b64 v[8:9], v5, s[2:3] offset:40
	s_mov_b32 s12, exec_lo
	v_dual_mov_b32 v14, s10 :: v_dual_mov_b32 v15, s11
	s_wait_loadcnt 0x0
	v_and_b32_e32 v9, s11, v9
	v_and_b32_e32 v8, s10, v8
	s_delay_alu instid0(VALU_DEP_1) | instskip(NEXT) | instid1(VALU_DEP_1)
	v_mul_u64_e32 v[8:9], 24, v[8:9]
	v_add_nc_u64_e32 v[12:13], v[24:25], v[8:9]
	global_store_b64 v[12:13], v[16:17], off
	global_wb scope:SCOPE_SYS
	s_wait_storecnt 0x0
	s_wait_xcnt 0x0
	global_atomic_cmpswap_b64 v[10:11], v5, v[14:17], s[2:3] offset:32 th:TH_ATOMIC_RETURN scope:SCOPE_SYS
	s_wait_loadcnt 0x0
	v_cmpx_ne_u64_e64 v[10:11], v[16:17]
	s_cbranch_execz .LBB7_593
; %bb.591:                              ;   in Loop: Header=BB7_532 Depth=1
	s_mov_b32 s13, 0
.LBB7_592:                              ;   Parent Loop BB7_532 Depth=1
                                        ; =>  This Inner Loop Header: Depth=2
	v_dual_mov_b32 v8, s10 :: v_dual_mov_b32 v9, s11
	s_sleep 1
	global_store_b64 v[12:13], v[10:11], off
	global_wb scope:SCOPE_SYS
	s_wait_storecnt 0x0
	s_wait_xcnt 0x0
	global_atomic_cmpswap_b64 v[8:9], v5, v[8:11], s[2:3] offset:32 th:TH_ATOMIC_RETURN scope:SCOPE_SYS
	s_wait_loadcnt 0x0
	v_cmp_eq_u64_e32 vcc_lo, v[8:9], v[10:11]
	v_mov_b64_e32 v[10:11], v[8:9]
	s_or_b32 s13, vcc_lo, s13
	s_delay_alu instid0(SALU_CYCLE_1)
	s_and_not1_b32 exec_lo, exec_lo, s13
	s_cbranch_execnz .LBB7_592
.LBB7_593:                              ;   in Loop: Header=BB7_532 Depth=1
	s_or_b32 exec_lo, exec_lo, s12
	global_load_b64 v[8:9], v5, s[2:3] offset:16
	s_mov_b32 s13, exec_lo
	s_mov_b32 s12, exec_lo
	v_mbcnt_lo_u32_b32 v1, s13, 0
	s_wait_xcnt 0x0
	s_delay_alu instid0(VALU_DEP_1)
	v_cmpx_eq_u32_e32 0, v1
	s_cbranch_execz .LBB7_595
; %bb.594:                              ;   in Loop: Header=BB7_532 Depth=1
	s_bcnt1_i32_b32 s13, s13
	s_delay_alu instid0(SALU_CYCLE_1)
	v_mov_b32_e32 v4, s13
	global_wb scope:SCOPE_SYS
	s_wait_loadcnt 0x0
	s_wait_storecnt 0x0
	global_atomic_add_u64 v[8:9], v[4:5], off offset:8 scope:SCOPE_SYS
.LBB7_595:                              ;   in Loop: Header=BB7_532 Depth=1
	s_wait_xcnt 0x0
	s_or_b32 exec_lo, exec_lo, s12
	s_wait_loadcnt 0x0
	global_load_b64 v[10:11], v[8:9], off offset:16
	s_wait_loadcnt 0x0
	v_cmp_eq_u64_e32 vcc_lo, 0, v[10:11]
	s_cbranch_vccnz .LBB7_597
; %bb.596:                              ;   in Loop: Header=BB7_532 Depth=1
	global_load_b32 v4, v[8:9], off offset:24
	s_wait_loadcnt 0x0
	v_readfirstlane_b32 s12, v4
	global_wb scope:SCOPE_SYS
	s_wait_storecnt 0x0
	s_wait_xcnt 0x0
	global_store_b64 v[10:11], v[4:5], off scope:SCOPE_SYS
	s_and_b32 m0, s12, 0xffffff
	s_sendmsg sendmsg(MSG_INTERRUPT)
.LBB7_597:                              ;   in Loop: Header=BB7_532 Depth=1
	s_wait_xcnt 0x0
	s_or_b32 exec_lo, exec_lo, s1
	v_mov_b32_e32 v1, v5
	s_delay_alu instid0(VALU_DEP_1)
	v_add_nc_u64_e32 v[8:9], v[26:27], v[0:1]
	s_branch .LBB7_601
.LBB7_598:                              ;   in Loop: Header=BB7_601 Depth=2
	s_wait_xcnt 0x0
	s_or_b32 exec_lo, exec_lo, s1
	s_delay_alu instid0(VALU_DEP_1)
	v_readfirstlane_b32 s1, v1
	s_cmp_eq_u32 s1, 0
	s_cbranch_scc1 .LBB7_600
; %bb.599:                              ;   in Loop: Header=BB7_601 Depth=2
	s_sleep 1
	s_cbranch_execnz .LBB7_601
	s_branch .LBB7_603
.LBB7_600:                              ;   in Loop: Header=BB7_532 Depth=1
	s_branch .LBB7_603
.LBB7_601:                              ;   Parent Loop BB7_532 Depth=1
                                        ; =>  This Inner Loop Header: Depth=2
	v_mov_b32_e32 v1, 1
	s_and_saveexec_b32 s1, s0
	s_cbranch_execz .LBB7_598
; %bb.602:                              ;   in Loop: Header=BB7_601 Depth=2
	global_load_b32 v1, v[28:29], off offset:20 scope:SCOPE_SYS
	s_wait_loadcnt 0x0
	global_inv scope:SCOPE_SYS
	v_and_b32_e32 v1, 1, v1
	s_branch .LBB7_598
.LBB7_603:                              ;   in Loop: Header=BB7_532 Depth=1
	global_load_b128 v[8:11], v[8:9], off
	s_wait_xcnt 0x0
	s_and_saveexec_b32 s12, s0
	s_cbranch_execz .LBB7_531
; %bb.604:                              ;   in Loop: Header=BB7_532 Depth=1
	s_wait_loadcnt 0x0
	s_clause 0x2
	global_load_b64 v[10:11], v5, s[2:3] offset:40
	global_load_b64 v[18:19], v5, s[2:3] offset:24 scope:SCOPE_SYS
	global_load_b64 v[12:13], v5, s[2:3]
	s_wait_loadcnt 0x2
	v_readfirstlane_b32 s14, v10
	v_readfirstlane_b32 s15, v11
	s_add_nc_u64 s[0:1], s[14:15], 1
	s_delay_alu instid0(SALU_CYCLE_1) | instskip(NEXT) | instid1(SALU_CYCLE_1)
	s_add_nc_u64 s[10:11], s[0:1], s[10:11]
	s_cmp_eq_u64 s[10:11], 0
	s_cselect_b32 s1, s1, s11
	s_cselect_b32 s0, s0, s10
	s_delay_alu instid0(SALU_CYCLE_1) | instskip(SKIP_1) | instid1(SALU_CYCLE_1)
	v_dual_mov_b32 v17, s1 :: v_dual_mov_b32 v16, s0
	s_and_b64 s[10:11], s[0:1], s[14:15]
	s_mul_u64 s[10:11], s[10:11], 24
	s_wait_loadcnt 0x0
	v_add_nc_u64_e32 v[14:15], s[10:11], v[12:13]
	global_store_b64 v[14:15], v[18:19], off
	global_wb scope:SCOPE_SYS
	s_wait_storecnt 0x0
	s_wait_xcnt 0x0
	global_atomic_cmpswap_b64 v[12:13], v5, v[16:19], s[2:3] offset:24 th:TH_ATOMIC_RETURN scope:SCOPE_SYS
	s_wait_loadcnt 0x0
	v_cmp_ne_u64_e32 vcc_lo, v[12:13], v[18:19]
	s_and_b32 exec_lo, exec_lo, vcc_lo
	s_cbranch_execz .LBB7_531
; %bb.605:                              ;   in Loop: Header=BB7_532 Depth=1
	s_mov_b32 s10, 0
.LBB7_606:                              ;   Parent Loop BB7_532 Depth=1
                                        ; =>  This Inner Loop Header: Depth=2
	v_dual_mov_b32 v10, s0 :: v_dual_mov_b32 v11, s1
	s_sleep 1
	global_store_b64 v[14:15], v[12:13], off
	global_wb scope:SCOPE_SYS
	s_wait_storecnt 0x0
	s_wait_xcnt 0x0
	global_atomic_cmpswap_b64 v[10:11], v5, v[10:13], s[2:3] offset:24 th:TH_ATOMIC_RETURN scope:SCOPE_SYS
	s_wait_loadcnt 0x0
	v_cmp_eq_u64_e32 vcc_lo, v[10:11], v[12:13]
	v_mov_b64_e32 v[12:13], v[10:11]
	s_or_b32 s10, vcc_lo, s10
	s_delay_alu instid0(SALU_CYCLE_1)
	s_and_not1_b32 exec_lo, exec_lo, s10
	s_cbranch_execnz .LBB7_606
	s_branch .LBB7_531
.LBB7_607:
	global_load_b64 v[2:3], v[2:3], off
	s_wait_xcnt 0x0
	s_and_saveexec_b32 s6, s0
	s_cbranch_execz .LBB7_611
; %bb.608:
	v_mov_b32_e32 v1, 0
	s_clause 0x2
	global_load_b64 v[4:5], v1, s[2:3] offset:40
	global_load_b64 v[12:13], v1, s[2:3] offset:24 scope:SCOPE_SYS
	global_load_b64 v[6:7], v1, s[2:3]
	s_wait_loadcnt 0x2
	v_readfirstlane_b32 s8, v4
	v_readfirstlane_b32 s9, v5
	s_add_nc_u64 s[0:1], s[8:9], 1
	s_delay_alu instid0(SALU_CYCLE_1) | instskip(NEXT) | instid1(SALU_CYCLE_1)
	s_add_nc_u64 s[4:5], s[0:1], s[4:5]
	s_cmp_eq_u64 s[4:5], 0
	s_cselect_b32 s1, s1, s5
	s_cselect_b32 s0, s0, s4
	v_mov_b32_e32 v11, s1
	s_and_b64 s[4:5], s[0:1], s[8:9]
	v_mov_b32_e32 v10, s0
	s_mul_u64 s[4:5], s[4:5], 24
	s_wait_loadcnt 0x0
	v_add_nc_u64_e32 v[8:9], s[4:5], v[6:7]
	global_store_b64 v[8:9], v[12:13], off
	global_wb scope:SCOPE_SYS
	s_wait_storecnt 0x0
	s_wait_xcnt 0x0
	global_atomic_cmpswap_b64 v[6:7], v1, v[10:13], s[2:3] offset:24 th:TH_ATOMIC_RETURN scope:SCOPE_SYS
	s_wait_loadcnt 0x0
	v_cmp_ne_u64_e32 vcc_lo, v[6:7], v[12:13]
	s_and_b32 exec_lo, exec_lo, vcc_lo
	s_cbranch_execz .LBB7_611
; %bb.609:
	s_mov_b32 s4, 0
.LBB7_610:                              ; =>This Inner Loop Header: Depth=1
	v_dual_mov_b32 v4, s0 :: v_dual_mov_b32 v5, s1
	s_sleep 1
	global_store_b64 v[8:9], v[6:7], off
	global_wb scope:SCOPE_SYS
	s_wait_storecnt 0x0
	s_wait_xcnt 0x0
	global_atomic_cmpswap_b64 v[4:5], v1, v[4:7], s[2:3] offset:24 th:TH_ATOMIC_RETURN scope:SCOPE_SYS
	s_wait_loadcnt 0x0
	v_cmp_eq_u64_e32 vcc_lo, v[4:5], v[6:7]
	v_mov_b64_e32 v[6:7], v[4:5]
	s_or_b32 s4, vcc_lo, s4
	s_delay_alu instid0(SALU_CYCLE_1)
	s_and_not1_b32 exec_lo, exec_lo, s4
	s_cbranch_execnz .LBB7_610
.LBB7_611:
	s_or_b32 exec_lo, exec_lo, s6
	s_get_pc_i64 s[4:5]
	s_add_nc_u64 s[4:5], s[4:5], .str.28@rel64+4
	s_delay_alu instid0(SALU_CYCLE_1)
	s_cmp_lg_u64 s[4:5], 0
	s_cbranch_scc0 .LBB7_753
; %bb.612:
	v_mov_b64_e32 v[6:7], 0x100000002
	s_wait_loadcnt 0x0
	v_dual_mov_b32 v9, v3 :: v_dual_bitop2_b32 v8, -3, v2 bitop3:0x40
	v_mov_b32_e32 v5, 0
	s_mov_b64 s[6:7], 35
	s_branch .LBB7_614
.LBB7_613:                              ;   in Loop: Header=BB7_614 Depth=1
	s_or_b32 exec_lo, exec_lo, s12
	s_sub_nc_u64 s[6:7], s[6:7], s[8:9]
	s_add_nc_u64 s[4:5], s[4:5], s[8:9]
	s_cmp_lg_u64 s[6:7], 0
	s_cbranch_scc0 .LBB7_691
.LBB7_614:                              ; =>This Loop Header: Depth=1
                                        ;     Child Loop BB7_617 Depth 2
                                        ;     Child Loop BB7_624 Depth 2
	;; [unrolled: 1-line block ×11, first 2 shown]
	s_wait_loadcnt 0x0
	v_min_u64 v[10:11], s[6:7], 56
	v_cmp_gt_u64_e64 s0, s[6:7], 7
	s_and_b32 vcc_lo, exec_lo, s0
	v_readfirstlane_b32 s8, v10
	v_readfirstlane_b32 s9, v11
	s_cbranch_vccnz .LBB7_619
; %bb.615:                              ;   in Loop: Header=BB7_614 Depth=1
	v_mov_b64_e32 v[10:11], 0
	s_cmp_eq_u64 s[6:7], 0
	s_cbranch_scc1 .LBB7_618
; %bb.616:                              ;   in Loop: Header=BB7_614 Depth=1
	s_mov_b64 s[0:1], 0
	s_mov_b64 s[10:11], 0
.LBB7_617:                              ;   Parent Loop BB7_614 Depth=1
                                        ; =>  This Inner Loop Header: Depth=2
	s_wait_xcnt 0x0
	s_add_nc_u64 s[12:13], s[4:5], s[10:11]
	s_add_nc_u64 s[10:11], s[10:11], 1
	global_load_u8 v1, v5, s[12:13]
	s_cmp_lg_u32 s8, s10
	s_wait_loadcnt 0x0
	v_and_b32_e32 v4, 0xffff, v1
	s_delay_alu instid0(VALU_DEP_1) | instskip(SKIP_1) | instid1(VALU_DEP_1)
	v_lshlrev_b64_e32 v[12:13], s0, v[4:5]
	s_add_nc_u64 s[0:1], s[0:1], 8
	v_or_b32_e32 v10, v12, v10
	s_delay_alu instid0(VALU_DEP_2)
	v_or_b32_e32 v11, v13, v11
	s_cbranch_scc1 .LBB7_617
.LBB7_618:                              ;   in Loop: Header=BB7_614 Depth=1
	s_mov_b64 s[10:11], s[4:5]
	s_mov_b32 s14, 0
	s_cbranch_execz .LBB7_620
	s_branch .LBB7_621
.LBB7_619:                              ;   in Loop: Header=BB7_614 Depth=1
	s_add_nc_u64 s[10:11], s[4:5], 8
	s_mov_b32 s14, 0
.LBB7_620:                              ;   in Loop: Header=BB7_614 Depth=1
	global_load_b64 v[10:11], v5, s[4:5]
	s_add_co_i32 s14, s8, -8
.LBB7_621:                              ;   in Loop: Header=BB7_614 Depth=1
	s_delay_alu instid0(SALU_CYCLE_1)
	s_cmp_gt_u32 s14, 7
	s_cbranch_scc1 .LBB7_626
; %bb.622:                              ;   in Loop: Header=BB7_614 Depth=1
	v_mov_b64_e32 v[12:13], 0
	s_cmp_eq_u32 s14, 0
	s_cbranch_scc1 .LBB7_625
; %bb.623:                              ;   in Loop: Header=BB7_614 Depth=1
	s_mov_b64 s[0:1], 0
	s_wait_xcnt 0x0
	s_mov_b64 s[12:13], 0
.LBB7_624:                              ;   Parent Loop BB7_614 Depth=1
                                        ; =>  This Inner Loop Header: Depth=2
	s_wait_xcnt 0x0
	s_add_nc_u64 s[28:29], s[10:11], s[12:13]
	s_add_nc_u64 s[12:13], s[12:13], 1
	global_load_u8 v1, v5, s[28:29]
	s_cmp_lg_u32 s14, s12
	s_wait_loadcnt 0x0
	v_and_b32_e32 v4, 0xffff, v1
	s_delay_alu instid0(VALU_DEP_1) | instskip(SKIP_1) | instid1(VALU_DEP_1)
	v_lshlrev_b64_e32 v[14:15], s0, v[4:5]
	s_add_nc_u64 s[0:1], s[0:1], 8
	v_or_b32_e32 v12, v14, v12
	s_delay_alu instid0(VALU_DEP_2)
	v_or_b32_e32 v13, v15, v13
	s_cbranch_scc1 .LBB7_624
.LBB7_625:                              ;   in Loop: Header=BB7_614 Depth=1
	s_wait_xcnt 0x0
	s_mov_b64 s[0:1], s[10:11]
	s_mov_b32 s15, 0
	s_cbranch_execz .LBB7_627
	s_branch .LBB7_628
.LBB7_626:                              ;   in Loop: Header=BB7_614 Depth=1
	s_add_nc_u64 s[0:1], s[10:11], 8
	s_wait_xcnt 0x0
                                        ; implicit-def: $vgpr12_vgpr13
	s_mov_b32 s15, 0
.LBB7_627:                              ;   in Loop: Header=BB7_614 Depth=1
	global_load_b64 v[12:13], v5, s[10:11]
	s_add_co_i32 s15, s14, -8
.LBB7_628:                              ;   in Loop: Header=BB7_614 Depth=1
	s_delay_alu instid0(SALU_CYCLE_1)
	s_cmp_gt_u32 s15, 7
	s_cbranch_scc1 .LBB7_633
; %bb.629:                              ;   in Loop: Header=BB7_614 Depth=1
	v_mov_b64_e32 v[14:15], 0
	s_cmp_eq_u32 s15, 0
	s_cbranch_scc1 .LBB7_632
; %bb.630:                              ;   in Loop: Header=BB7_614 Depth=1
	s_wait_xcnt 0x0
	s_mov_b64 s[10:11], 0
	s_mov_b64 s[12:13], 0
.LBB7_631:                              ;   Parent Loop BB7_614 Depth=1
                                        ; =>  This Inner Loop Header: Depth=2
	s_wait_xcnt 0x0
	s_add_nc_u64 s[28:29], s[0:1], s[12:13]
	s_add_nc_u64 s[12:13], s[12:13], 1
	global_load_u8 v1, v5, s[28:29]
	s_cmp_lg_u32 s15, s12
	s_wait_loadcnt 0x0
	v_and_b32_e32 v4, 0xffff, v1
	s_delay_alu instid0(VALU_DEP_1) | instskip(SKIP_1) | instid1(VALU_DEP_1)
	v_lshlrev_b64_e32 v[16:17], s10, v[4:5]
	s_add_nc_u64 s[10:11], s[10:11], 8
	v_or_b32_e32 v14, v16, v14
	s_delay_alu instid0(VALU_DEP_2)
	v_or_b32_e32 v15, v17, v15
	s_cbranch_scc1 .LBB7_631
.LBB7_632:                              ;   in Loop: Header=BB7_614 Depth=1
	s_wait_xcnt 0x0
	s_mov_b64 s[10:11], s[0:1]
	s_mov_b32 s14, 0
	s_cbranch_execz .LBB7_634
	s_branch .LBB7_635
.LBB7_633:                              ;   in Loop: Header=BB7_614 Depth=1
	s_wait_xcnt 0x0
	s_add_nc_u64 s[10:11], s[0:1], 8
	s_mov_b32 s14, 0
.LBB7_634:                              ;   in Loop: Header=BB7_614 Depth=1
	global_load_b64 v[14:15], v5, s[0:1]
	s_add_co_i32 s14, s15, -8
.LBB7_635:                              ;   in Loop: Header=BB7_614 Depth=1
	s_delay_alu instid0(SALU_CYCLE_1)
	s_cmp_gt_u32 s14, 7
	s_cbranch_scc1 .LBB7_640
; %bb.636:                              ;   in Loop: Header=BB7_614 Depth=1
	v_mov_b64_e32 v[16:17], 0
	s_cmp_eq_u32 s14, 0
	s_cbranch_scc1 .LBB7_639
; %bb.637:                              ;   in Loop: Header=BB7_614 Depth=1
	s_wait_xcnt 0x0
	s_mov_b64 s[0:1], 0
	s_mov_b64 s[12:13], 0
.LBB7_638:                              ;   Parent Loop BB7_614 Depth=1
                                        ; =>  This Inner Loop Header: Depth=2
	s_wait_xcnt 0x0
	s_add_nc_u64 s[28:29], s[10:11], s[12:13]
	s_add_nc_u64 s[12:13], s[12:13], 1
	global_load_u8 v1, v5, s[28:29]
	s_cmp_lg_u32 s14, s12
	s_wait_loadcnt 0x0
	v_and_b32_e32 v4, 0xffff, v1
	s_delay_alu instid0(VALU_DEP_1) | instskip(SKIP_1) | instid1(VALU_DEP_1)
	v_lshlrev_b64_e32 v[18:19], s0, v[4:5]
	s_add_nc_u64 s[0:1], s[0:1], 8
	v_or_b32_e32 v16, v18, v16
	s_delay_alu instid0(VALU_DEP_2)
	v_or_b32_e32 v17, v19, v17
	s_cbranch_scc1 .LBB7_638
.LBB7_639:                              ;   in Loop: Header=BB7_614 Depth=1
	s_wait_xcnt 0x0
	s_mov_b64 s[0:1], s[10:11]
	s_mov_b32 s15, 0
	s_cbranch_execz .LBB7_641
	s_branch .LBB7_642
.LBB7_640:                              ;   in Loop: Header=BB7_614 Depth=1
	s_wait_xcnt 0x0
	s_add_nc_u64 s[0:1], s[10:11], 8
                                        ; implicit-def: $vgpr16_vgpr17
	s_mov_b32 s15, 0
.LBB7_641:                              ;   in Loop: Header=BB7_614 Depth=1
	global_load_b64 v[16:17], v5, s[10:11]
	s_add_co_i32 s15, s14, -8
.LBB7_642:                              ;   in Loop: Header=BB7_614 Depth=1
	s_delay_alu instid0(SALU_CYCLE_1)
	s_cmp_gt_u32 s15, 7
	s_cbranch_scc1 .LBB7_647
; %bb.643:                              ;   in Loop: Header=BB7_614 Depth=1
	v_mov_b64_e32 v[18:19], 0
	s_cmp_eq_u32 s15, 0
	s_cbranch_scc1 .LBB7_646
; %bb.644:                              ;   in Loop: Header=BB7_614 Depth=1
	s_wait_xcnt 0x0
	s_mov_b64 s[10:11], 0
	s_mov_b64 s[12:13], 0
.LBB7_645:                              ;   Parent Loop BB7_614 Depth=1
                                        ; =>  This Inner Loop Header: Depth=2
	s_wait_xcnt 0x0
	s_add_nc_u64 s[28:29], s[0:1], s[12:13]
	s_add_nc_u64 s[12:13], s[12:13], 1
	global_load_u8 v1, v5, s[28:29]
	s_cmp_lg_u32 s15, s12
	s_wait_loadcnt 0x0
	v_and_b32_e32 v4, 0xffff, v1
	s_delay_alu instid0(VALU_DEP_1) | instskip(SKIP_1) | instid1(VALU_DEP_1)
	v_lshlrev_b64_e32 v[20:21], s10, v[4:5]
	s_add_nc_u64 s[10:11], s[10:11], 8
	v_or_b32_e32 v18, v20, v18
	s_delay_alu instid0(VALU_DEP_2)
	v_or_b32_e32 v19, v21, v19
	s_cbranch_scc1 .LBB7_645
.LBB7_646:                              ;   in Loop: Header=BB7_614 Depth=1
	s_wait_xcnt 0x0
	s_mov_b64 s[10:11], s[0:1]
	s_mov_b32 s14, 0
	s_cbranch_execz .LBB7_648
	s_branch .LBB7_649
.LBB7_647:                              ;   in Loop: Header=BB7_614 Depth=1
	s_wait_xcnt 0x0
	s_add_nc_u64 s[10:11], s[0:1], 8
	s_mov_b32 s14, 0
.LBB7_648:                              ;   in Loop: Header=BB7_614 Depth=1
	global_load_b64 v[18:19], v5, s[0:1]
	s_add_co_i32 s14, s15, -8
.LBB7_649:                              ;   in Loop: Header=BB7_614 Depth=1
	s_delay_alu instid0(SALU_CYCLE_1)
	s_cmp_gt_u32 s14, 7
	s_cbranch_scc1 .LBB7_654
; %bb.650:                              ;   in Loop: Header=BB7_614 Depth=1
	v_mov_b64_e32 v[20:21], 0
	s_cmp_eq_u32 s14, 0
	s_cbranch_scc1 .LBB7_653
; %bb.651:                              ;   in Loop: Header=BB7_614 Depth=1
	s_wait_xcnt 0x0
	s_mov_b64 s[0:1], 0
	s_mov_b64 s[12:13], 0
.LBB7_652:                              ;   Parent Loop BB7_614 Depth=1
                                        ; =>  This Inner Loop Header: Depth=2
	s_wait_xcnt 0x0
	s_add_nc_u64 s[28:29], s[10:11], s[12:13]
	s_add_nc_u64 s[12:13], s[12:13], 1
	global_load_u8 v1, v5, s[28:29]
	s_cmp_lg_u32 s14, s12
	s_wait_loadcnt 0x0
	v_and_b32_e32 v4, 0xffff, v1
	s_delay_alu instid0(VALU_DEP_1) | instskip(SKIP_1) | instid1(VALU_DEP_1)
	v_lshlrev_b64_e32 v[22:23], s0, v[4:5]
	s_add_nc_u64 s[0:1], s[0:1], 8
	v_or_b32_e32 v20, v22, v20
	s_delay_alu instid0(VALU_DEP_2)
	v_or_b32_e32 v21, v23, v21
	s_cbranch_scc1 .LBB7_652
.LBB7_653:                              ;   in Loop: Header=BB7_614 Depth=1
	s_wait_xcnt 0x0
	s_mov_b64 s[0:1], s[10:11]
	s_mov_b32 s15, 0
	s_cbranch_execz .LBB7_655
	s_branch .LBB7_656
.LBB7_654:                              ;   in Loop: Header=BB7_614 Depth=1
	s_wait_xcnt 0x0
	s_add_nc_u64 s[0:1], s[10:11], 8
                                        ; implicit-def: $vgpr20_vgpr21
	s_mov_b32 s15, 0
.LBB7_655:                              ;   in Loop: Header=BB7_614 Depth=1
	global_load_b64 v[20:21], v5, s[10:11]
	s_add_co_i32 s15, s14, -8
.LBB7_656:                              ;   in Loop: Header=BB7_614 Depth=1
	s_delay_alu instid0(SALU_CYCLE_1)
	s_cmp_gt_u32 s15, 7
	s_cbranch_scc1 .LBB7_661
; %bb.657:                              ;   in Loop: Header=BB7_614 Depth=1
	v_mov_b64_e32 v[22:23], 0
	s_cmp_eq_u32 s15, 0
	s_cbranch_scc1 .LBB7_660
; %bb.658:                              ;   in Loop: Header=BB7_614 Depth=1
	s_wait_xcnt 0x0
	s_mov_b64 s[10:11], 0
	s_mov_b64 s[12:13], s[0:1]
.LBB7_659:                              ;   Parent Loop BB7_614 Depth=1
                                        ; =>  This Inner Loop Header: Depth=2
	global_load_u8 v1, v5, s[12:13]
	s_add_co_i32 s15, s15, -1
	s_wait_xcnt 0x0
	s_add_nc_u64 s[12:13], s[12:13], 1
	s_cmp_lg_u32 s15, 0
	s_wait_loadcnt 0x0
	v_and_b32_e32 v4, 0xffff, v1
	s_delay_alu instid0(VALU_DEP_1) | instskip(SKIP_1) | instid1(VALU_DEP_1)
	v_lshlrev_b64_e32 v[24:25], s10, v[4:5]
	s_add_nc_u64 s[10:11], s[10:11], 8
	v_or_b32_e32 v22, v24, v22
	s_delay_alu instid0(VALU_DEP_2)
	v_or_b32_e32 v23, v25, v23
	s_cbranch_scc1 .LBB7_659
.LBB7_660:                              ;   in Loop: Header=BB7_614 Depth=1
	s_wait_xcnt 0x0
	s_cbranch_execz .LBB7_662
	s_branch .LBB7_663
.LBB7_661:                              ;   in Loop: Header=BB7_614 Depth=1
	s_wait_xcnt 0x0
.LBB7_662:                              ;   in Loop: Header=BB7_614 Depth=1
	global_load_b64 v[22:23], v5, s[0:1]
.LBB7_663:                              ;   in Loop: Header=BB7_614 Depth=1
	s_wait_xcnt 0x0
	v_readfirstlane_b32 s0, v32
	v_mov_b64_e32 v[28:29], 0
	s_delay_alu instid0(VALU_DEP_2)
	v_cmp_eq_u32_e64 s0, s0, v32
	s_and_saveexec_b32 s1, s0
	s_cbranch_execz .LBB7_669
; %bb.664:                              ;   in Loop: Header=BB7_614 Depth=1
	global_load_b64 v[26:27], v5, s[2:3] offset:24 scope:SCOPE_SYS
	s_wait_loadcnt 0x0
	global_inv scope:SCOPE_SYS
	s_clause 0x1
	global_load_b64 v[24:25], v5, s[2:3] offset:40
	global_load_b64 v[28:29], v5, s[2:3]
	s_mov_b32 s10, exec_lo
	s_wait_loadcnt 0x1
	v_and_b32_e32 v24, v24, v26
	v_and_b32_e32 v25, v25, v27
	s_delay_alu instid0(VALU_DEP_1) | instskip(SKIP_1) | instid1(VALU_DEP_1)
	v_mul_u64_e32 v[24:25], 24, v[24:25]
	s_wait_loadcnt 0x0
	v_add_nc_u64_e32 v[24:25], v[28:29], v[24:25]
	global_load_b64 v[24:25], v[24:25], off scope:SCOPE_SYS
	s_wait_xcnt 0x0
	s_wait_loadcnt 0x0
	global_atomic_cmpswap_b64 v[28:29], v5, v[24:27], s[2:3] offset:24 th:TH_ATOMIC_RETURN scope:SCOPE_SYS
	s_wait_loadcnt 0x0
	global_inv scope:SCOPE_SYS
	s_wait_xcnt 0x0
	v_cmpx_ne_u64_e64 v[28:29], v[26:27]
	s_cbranch_execz .LBB7_668
; %bb.665:                              ;   in Loop: Header=BB7_614 Depth=1
	s_mov_b32 s11, 0
.LBB7_666:                              ;   Parent Loop BB7_614 Depth=1
                                        ; =>  This Inner Loop Header: Depth=2
	s_sleep 1
	s_clause 0x1
	global_load_b64 v[24:25], v5, s[2:3] offset:40
	global_load_b64 v[30:31], v5, s[2:3]
	v_mov_b64_e32 v[26:27], v[28:29]
	s_wait_loadcnt 0x1
	s_delay_alu instid0(VALU_DEP_1) | instskip(SKIP_1) | instid1(VALU_DEP_1)
	v_and_b32_e32 v1, v24, v26
	s_wait_loadcnt 0x0
	v_mad_nc_u64_u32 v[28:29], v1, 24, v[30:31]
	s_delay_alu instid0(VALU_DEP_3) | instskip(NEXT) | instid1(VALU_DEP_1)
	v_and_b32_e32 v1, v25, v27
	v_mad_u32 v29, v1, 24, v29
	global_load_b64 v[24:25], v[28:29], off scope:SCOPE_SYS
	s_wait_xcnt 0x0
	s_wait_loadcnt 0x0
	global_atomic_cmpswap_b64 v[28:29], v5, v[24:27], s[2:3] offset:24 th:TH_ATOMIC_RETURN scope:SCOPE_SYS
	s_wait_loadcnt 0x0
	global_inv scope:SCOPE_SYS
	v_cmp_eq_u64_e32 vcc_lo, v[28:29], v[26:27]
	s_or_b32 s11, vcc_lo, s11
	s_wait_xcnt 0x0
	s_and_not1_b32 exec_lo, exec_lo, s11
	s_cbranch_execnz .LBB7_666
; %bb.667:                              ;   in Loop: Header=BB7_614 Depth=1
	s_or_b32 exec_lo, exec_lo, s11
.LBB7_668:                              ;   in Loop: Header=BB7_614 Depth=1
	s_delay_alu instid0(SALU_CYCLE_1)
	s_or_b32 exec_lo, exec_lo, s10
.LBB7_669:                              ;   in Loop: Header=BB7_614 Depth=1
	s_delay_alu instid0(SALU_CYCLE_1)
	s_or_b32 exec_lo, exec_lo, s1
	s_clause 0x1
	global_load_b64 v[30:31], v5, s[2:3] offset:40
	global_load_b128 v[24:27], v5, s[2:3]
	v_readfirstlane_b32 s10, v28
	v_readfirstlane_b32 s11, v29
	s_mov_b32 s1, exec_lo
	s_wait_loadcnt 0x1
	v_and_b32_e32 v30, s10, v30
	v_and_b32_e32 v31, s11, v31
	s_delay_alu instid0(VALU_DEP_1) | instskip(SKIP_1) | instid1(VALU_DEP_1)
	v_mul_u64_e32 v[28:29], 24, v[30:31]
	s_wait_loadcnt 0x0
	v_add_nc_u64_e32 v[28:29], v[24:25], v[28:29]
	s_wait_xcnt 0x0
	s_and_saveexec_b32 s12, s0
	s_cbranch_execz .LBB7_671
; %bb.670:                              ;   in Loop: Header=BB7_614 Depth=1
	v_mov_b32_e32 v4, s1
	global_store_b128 v[28:29], v[4:7], off offset:8
.LBB7_671:                              ;   in Loop: Header=BB7_614 Depth=1
	s_wait_xcnt 0x0
	s_or_b32 exec_lo, exec_lo, s12
	v_cmp_gt_u64_e64 s1, s[6:7], 56
	v_lshlrev_b64_e32 v[30:31], 12, v[30:31]
	v_and_b32_e32 v1, 0xffffff1f, v8
	s_and_b32 s1, s1, exec_lo
	s_delay_alu instid0(VALU_DEP_2) | instskip(SKIP_4) | instid1(VALU_DEP_2)
	v_add_nc_u64_e32 v[26:27], v[26:27], v[30:31]
	s_cselect_b32 s1, 0, 2
	s_lshl_b32 s12, s8, 2
	v_or_b32_e32 v1, s1, v1
	s_add_co_i32 s1, s12, 28
	v_readfirstlane_b32 s12, v26
	s_delay_alu instid0(VALU_DEP_3) | instskip(NEXT) | instid1(VALU_DEP_3)
	v_readfirstlane_b32 s13, v27
	v_and_or_b32 v8, 0x1e0, s1, v1
	s_clause 0x3
	global_store_b128 v0, v[8:11], s[12:13]
	global_store_b128 v0, v[12:15], s[12:13] offset:16
	global_store_b128 v0, v[16:19], s[12:13] offset:32
	;; [unrolled: 1-line block ×3, first 2 shown]
	s_wait_xcnt 0x0
	s_and_saveexec_b32 s1, s0
	s_cbranch_execz .LBB7_679
; %bb.672:                              ;   in Loop: Header=BB7_614 Depth=1
	s_clause 0x1
	global_load_b64 v[16:17], v5, s[2:3] offset:32 scope:SCOPE_SYS
	global_load_b64 v[8:9], v5, s[2:3] offset:40
	s_mov_b32 s12, exec_lo
	v_dual_mov_b32 v14, s10 :: v_dual_mov_b32 v15, s11
	s_wait_loadcnt 0x0
	v_and_b32_e32 v9, s11, v9
	v_and_b32_e32 v8, s10, v8
	s_delay_alu instid0(VALU_DEP_1) | instskip(NEXT) | instid1(VALU_DEP_1)
	v_mul_u64_e32 v[8:9], 24, v[8:9]
	v_add_nc_u64_e32 v[12:13], v[24:25], v[8:9]
	global_store_b64 v[12:13], v[16:17], off
	global_wb scope:SCOPE_SYS
	s_wait_storecnt 0x0
	s_wait_xcnt 0x0
	global_atomic_cmpswap_b64 v[10:11], v5, v[14:17], s[2:3] offset:32 th:TH_ATOMIC_RETURN scope:SCOPE_SYS
	s_wait_loadcnt 0x0
	v_cmpx_ne_u64_e64 v[10:11], v[16:17]
	s_cbranch_execz .LBB7_675
; %bb.673:                              ;   in Loop: Header=BB7_614 Depth=1
	s_mov_b32 s13, 0
.LBB7_674:                              ;   Parent Loop BB7_614 Depth=1
                                        ; =>  This Inner Loop Header: Depth=2
	v_dual_mov_b32 v8, s10 :: v_dual_mov_b32 v9, s11
	s_sleep 1
	global_store_b64 v[12:13], v[10:11], off
	global_wb scope:SCOPE_SYS
	s_wait_storecnt 0x0
	s_wait_xcnt 0x0
	global_atomic_cmpswap_b64 v[8:9], v5, v[8:11], s[2:3] offset:32 th:TH_ATOMIC_RETURN scope:SCOPE_SYS
	s_wait_loadcnt 0x0
	v_cmp_eq_u64_e32 vcc_lo, v[8:9], v[10:11]
	v_mov_b64_e32 v[10:11], v[8:9]
	s_or_b32 s13, vcc_lo, s13
	s_delay_alu instid0(SALU_CYCLE_1)
	s_and_not1_b32 exec_lo, exec_lo, s13
	s_cbranch_execnz .LBB7_674
.LBB7_675:                              ;   in Loop: Header=BB7_614 Depth=1
	s_or_b32 exec_lo, exec_lo, s12
	global_load_b64 v[8:9], v5, s[2:3] offset:16
	s_mov_b32 s13, exec_lo
	s_mov_b32 s12, exec_lo
	v_mbcnt_lo_u32_b32 v1, s13, 0
	s_wait_xcnt 0x0
	s_delay_alu instid0(VALU_DEP_1)
	v_cmpx_eq_u32_e32 0, v1
	s_cbranch_execz .LBB7_677
; %bb.676:                              ;   in Loop: Header=BB7_614 Depth=1
	s_bcnt1_i32_b32 s13, s13
	s_delay_alu instid0(SALU_CYCLE_1)
	v_mov_b32_e32 v4, s13
	global_wb scope:SCOPE_SYS
	s_wait_loadcnt 0x0
	s_wait_storecnt 0x0
	global_atomic_add_u64 v[8:9], v[4:5], off offset:8 scope:SCOPE_SYS
.LBB7_677:                              ;   in Loop: Header=BB7_614 Depth=1
	s_wait_xcnt 0x0
	s_or_b32 exec_lo, exec_lo, s12
	s_wait_loadcnt 0x0
	global_load_b64 v[10:11], v[8:9], off offset:16
	s_wait_loadcnt 0x0
	v_cmp_eq_u64_e32 vcc_lo, 0, v[10:11]
	s_cbranch_vccnz .LBB7_679
; %bb.678:                              ;   in Loop: Header=BB7_614 Depth=1
	global_load_b32 v4, v[8:9], off offset:24
	s_wait_loadcnt 0x0
	v_readfirstlane_b32 s12, v4
	global_wb scope:SCOPE_SYS
	s_wait_storecnt 0x0
	s_wait_xcnt 0x0
	global_store_b64 v[10:11], v[4:5], off scope:SCOPE_SYS
	s_and_b32 m0, s12, 0xffffff
	s_sendmsg sendmsg(MSG_INTERRUPT)
.LBB7_679:                              ;   in Loop: Header=BB7_614 Depth=1
	s_wait_xcnt 0x0
	s_or_b32 exec_lo, exec_lo, s1
	v_mov_b32_e32 v1, v5
	s_delay_alu instid0(VALU_DEP_1)
	v_add_nc_u64_e32 v[8:9], v[26:27], v[0:1]
	s_branch .LBB7_683
.LBB7_680:                              ;   in Loop: Header=BB7_683 Depth=2
	s_wait_xcnt 0x0
	s_or_b32 exec_lo, exec_lo, s1
	s_delay_alu instid0(VALU_DEP_1)
	v_readfirstlane_b32 s1, v1
	s_cmp_eq_u32 s1, 0
	s_cbranch_scc1 .LBB7_682
; %bb.681:                              ;   in Loop: Header=BB7_683 Depth=2
	s_sleep 1
	s_cbranch_execnz .LBB7_683
	s_branch .LBB7_685
.LBB7_682:                              ;   in Loop: Header=BB7_614 Depth=1
	s_branch .LBB7_685
.LBB7_683:                              ;   Parent Loop BB7_614 Depth=1
                                        ; =>  This Inner Loop Header: Depth=2
	v_mov_b32_e32 v1, 1
	s_and_saveexec_b32 s1, s0
	s_cbranch_execz .LBB7_680
; %bb.684:                              ;   in Loop: Header=BB7_683 Depth=2
	global_load_b32 v1, v[28:29], off offset:20 scope:SCOPE_SYS
	s_wait_loadcnt 0x0
	global_inv scope:SCOPE_SYS
	v_and_b32_e32 v1, 1, v1
	s_branch .LBB7_680
.LBB7_685:                              ;   in Loop: Header=BB7_614 Depth=1
	global_load_b128 v[8:11], v[8:9], off
	s_wait_xcnt 0x0
	s_and_saveexec_b32 s12, s0
	s_cbranch_execz .LBB7_613
; %bb.686:                              ;   in Loop: Header=BB7_614 Depth=1
	s_wait_loadcnt 0x0
	s_clause 0x2
	global_load_b64 v[10:11], v5, s[2:3] offset:40
	global_load_b64 v[18:19], v5, s[2:3] offset:24 scope:SCOPE_SYS
	global_load_b64 v[12:13], v5, s[2:3]
	s_wait_loadcnt 0x2
	v_readfirstlane_b32 s14, v10
	v_readfirstlane_b32 s15, v11
	s_add_nc_u64 s[0:1], s[14:15], 1
	s_delay_alu instid0(SALU_CYCLE_1) | instskip(NEXT) | instid1(SALU_CYCLE_1)
	s_add_nc_u64 s[10:11], s[0:1], s[10:11]
	s_cmp_eq_u64 s[10:11], 0
	s_cselect_b32 s1, s1, s11
	s_cselect_b32 s0, s0, s10
	s_delay_alu instid0(SALU_CYCLE_1) | instskip(SKIP_1) | instid1(SALU_CYCLE_1)
	v_dual_mov_b32 v17, s1 :: v_dual_mov_b32 v16, s0
	s_and_b64 s[10:11], s[0:1], s[14:15]
	s_mul_u64 s[10:11], s[10:11], 24
	s_wait_loadcnt 0x0
	v_add_nc_u64_e32 v[14:15], s[10:11], v[12:13]
	global_store_b64 v[14:15], v[18:19], off
	global_wb scope:SCOPE_SYS
	s_wait_storecnt 0x0
	s_wait_xcnt 0x0
	global_atomic_cmpswap_b64 v[12:13], v5, v[16:19], s[2:3] offset:24 th:TH_ATOMIC_RETURN scope:SCOPE_SYS
	s_wait_loadcnt 0x0
	v_cmp_ne_u64_e32 vcc_lo, v[12:13], v[18:19]
	s_and_b32 exec_lo, exec_lo, vcc_lo
	s_cbranch_execz .LBB7_613
; %bb.687:                              ;   in Loop: Header=BB7_614 Depth=1
	s_mov_b32 s10, 0
.LBB7_688:                              ;   Parent Loop BB7_614 Depth=1
                                        ; =>  This Inner Loop Header: Depth=2
	v_dual_mov_b32 v10, s0 :: v_dual_mov_b32 v11, s1
	s_sleep 1
	global_store_b64 v[14:15], v[12:13], off
	global_wb scope:SCOPE_SYS
	s_wait_storecnt 0x0
	s_wait_xcnt 0x0
	global_atomic_cmpswap_b64 v[10:11], v5, v[10:13], s[2:3] offset:24 th:TH_ATOMIC_RETURN scope:SCOPE_SYS
	s_wait_loadcnt 0x0
	v_cmp_eq_u64_e32 vcc_lo, v[10:11], v[12:13]
	v_mov_b64_e32 v[12:13], v[10:11]
	s_or_b32 s10, vcc_lo, s10
	s_delay_alu instid0(SALU_CYCLE_1)
	s_and_not1_b32 exec_lo, exec_lo, s10
	s_cbranch_execnz .LBB7_688
	s_branch .LBB7_613
.LBB7_689:
	s_branch .LBB7_720
.LBB7_690:
	s_branch .LBB7_751
.LBB7_691:
	s_branch .LBB7_781
.LBB7_692:
	s_cbranch_execz .LBB7_720
; %bb.693:
	v_readfirstlane_b32 s0, v32
	s_wait_loadcnt 0x0
	v_mov_b64_e32 v[10:11], 0
	s_delay_alu instid0(VALU_DEP_2)
	v_cmp_eq_u32_e64 s0, s0, v32
	s_and_saveexec_b32 s1, s0
	s_cbranch_execz .LBB7_699
; %bb.694:
	v_mov_b32_e32 v1, 0
	s_mov_b32 s4, exec_lo
	global_load_b64 v[6:7], v1, s[2:3] offset:24 scope:SCOPE_SYS
	s_wait_loadcnt 0x0
	global_inv scope:SCOPE_SYS
	s_clause 0x1
	global_load_b64 v[4:5], v1, s[2:3] offset:40
	global_load_b64 v[8:9], v1, s[2:3]
	s_wait_loadcnt 0x1
	v_and_b32_e32 v4, v4, v6
	v_and_b32_e32 v5, v5, v7
	s_delay_alu instid0(VALU_DEP_1) | instskip(SKIP_1) | instid1(VALU_DEP_1)
	v_mul_u64_e32 v[4:5], 24, v[4:5]
	s_wait_loadcnt 0x0
	v_add_nc_u64_e32 v[4:5], v[8:9], v[4:5]
	global_load_b64 v[4:5], v[4:5], off scope:SCOPE_SYS
	s_wait_xcnt 0x0
	s_wait_loadcnt 0x0
	global_atomic_cmpswap_b64 v[10:11], v1, v[4:7], s[2:3] offset:24 th:TH_ATOMIC_RETURN scope:SCOPE_SYS
	s_wait_loadcnt 0x0
	global_inv scope:SCOPE_SYS
	s_wait_xcnt 0x0
	v_cmpx_ne_u64_e64 v[10:11], v[6:7]
	s_cbranch_execz .LBB7_698
; %bb.695:
	s_mov_b32 s5, 0
.LBB7_696:                              ; =>This Inner Loop Header: Depth=1
	s_sleep 1
	s_clause 0x1
	global_load_b64 v[4:5], v1, s[2:3] offset:40
	global_load_b64 v[8:9], v1, s[2:3]
	v_mov_b64_e32 v[6:7], v[10:11]
	s_wait_loadcnt 0x1
	s_delay_alu instid0(VALU_DEP_1) | instskip(SKIP_1) | instid1(VALU_DEP_1)
	v_and_b32_e32 v4, v4, v6
	s_wait_loadcnt 0x0
	v_mad_nc_u64_u32 v[8:9], v4, 24, v[8:9]
	s_delay_alu instid0(VALU_DEP_3) | instskip(NEXT) | instid1(VALU_DEP_1)
	v_and_b32_e32 v4, v5, v7
	v_mad_u32 v9, v4, 24, v9
	global_load_b64 v[4:5], v[8:9], off scope:SCOPE_SYS
	s_wait_xcnt 0x0
	s_wait_loadcnt 0x0
	global_atomic_cmpswap_b64 v[10:11], v1, v[4:7], s[2:3] offset:24 th:TH_ATOMIC_RETURN scope:SCOPE_SYS
	s_wait_loadcnt 0x0
	global_inv scope:SCOPE_SYS
	v_cmp_eq_u64_e32 vcc_lo, v[10:11], v[6:7]
	s_or_b32 s5, vcc_lo, s5
	s_wait_xcnt 0x0
	s_and_not1_b32 exec_lo, exec_lo, s5
	s_cbranch_execnz .LBB7_696
; %bb.697:
	s_or_b32 exec_lo, exec_lo, s5
.LBB7_698:
	s_delay_alu instid0(SALU_CYCLE_1)
	s_or_b32 exec_lo, exec_lo, s4
.LBB7_699:
	s_delay_alu instid0(SALU_CYCLE_1)
	s_or_b32 exec_lo, exec_lo, s1
	v_readfirstlane_b32 s4, v10
	v_mov_b32_e32 v4, 0
	v_readfirstlane_b32 s5, v11
	s_mov_b32 s1, exec_lo
	s_clause 0x1
	global_load_b64 v[12:13], v4, s[2:3] offset:40
	global_load_b128 v[6:9], v4, s[2:3]
	s_wait_loadcnt 0x1
	v_and_b32_e32 v12, s4, v12
	v_and_b32_e32 v13, s5, v13
	s_delay_alu instid0(VALU_DEP_1) | instskip(SKIP_1) | instid1(VALU_DEP_1)
	v_mul_u64_e32 v[10:11], 24, v[12:13]
	s_wait_loadcnt 0x0
	v_add_nc_u64_e32 v[10:11], v[6:7], v[10:11]
	s_wait_xcnt 0x0
	s_and_saveexec_b32 s6, s0
	s_cbranch_execz .LBB7_701
; %bb.700:
	v_mov_b64_e32 v[16:17], 0x100000002
	v_dual_mov_b32 v14, s1 :: v_dual_mov_b32 v15, v4
	global_store_b128 v[10:11], v[14:17], off offset:8
.LBB7_701:
	s_wait_xcnt 0x0
	s_or_b32 exec_lo, exec_lo, s6
	v_lshlrev_b64_e32 v[12:13], 12, v[12:13]
	s_mov_b32 s8, 0
	v_and_or_b32 v2, 0xffffff1d, v2, 34
	s_mov_b32 s10, s8
	s_mov_b32 s11, s8
	;; [unrolled: 1-line block ×3, first 2 shown]
	v_mov_b32_e32 v5, v4
	v_add_nc_u64_e32 v[8:9], v[8:9], v[12:13]
	v_mov_b64_e32 v[14:15], s[10:11]
	v_mov_b64_e32 v[12:13], s[8:9]
	s_delay_alu instid0(VALU_DEP_3) | instskip(NEXT) | instid1(VALU_DEP_4)
	v_readfirstlane_b32 s6, v8
	v_readfirstlane_b32 s7, v9
	s_clause 0x3
	global_store_b128 v0, v[2:5], s[6:7]
	global_store_b128 v0, v[12:15], s[6:7] offset:16
	global_store_b128 v0, v[12:15], s[6:7] offset:32
	;; [unrolled: 1-line block ×3, first 2 shown]
	s_wait_xcnt 0x0
	s_and_saveexec_b32 s1, s0
	s_cbranch_execz .LBB7_709
; %bb.702:
	v_dual_mov_b32 v8, 0 :: v_dual_mov_b32 v13, s5
	s_mov_b32 s6, exec_lo
	s_clause 0x1
	global_load_b64 v[14:15], v8, s[2:3] offset:32 scope:SCOPE_SYS
	global_load_b64 v[0:1], v8, s[2:3] offset:40
	s_wait_loadcnt 0x0
	v_dual_mov_b32 v12, s4 :: v_dual_bitop2_b32 v1, s5, v1 bitop3:0x40
	v_and_b32_e32 v0, s4, v0
	s_delay_alu instid0(VALU_DEP_1) | instskip(NEXT) | instid1(VALU_DEP_1)
	v_mul_u64_e32 v[0:1], 24, v[0:1]
	v_add_nc_u64_e32 v[4:5], v[6:7], v[0:1]
	global_store_b64 v[4:5], v[14:15], off
	global_wb scope:SCOPE_SYS
	s_wait_storecnt 0x0
	s_wait_xcnt 0x0
	global_atomic_cmpswap_b64 v[2:3], v8, v[12:15], s[2:3] offset:32 th:TH_ATOMIC_RETURN scope:SCOPE_SYS
	s_wait_loadcnt 0x0
	v_cmpx_ne_u64_e64 v[2:3], v[14:15]
	s_cbranch_execz .LBB7_705
; %bb.703:
	s_mov_b32 s7, 0
.LBB7_704:                              ; =>This Inner Loop Header: Depth=1
	v_dual_mov_b32 v0, s4 :: v_dual_mov_b32 v1, s5
	s_sleep 1
	global_store_b64 v[4:5], v[2:3], off
	global_wb scope:SCOPE_SYS
	s_wait_storecnt 0x0
	s_wait_xcnt 0x0
	global_atomic_cmpswap_b64 v[0:1], v8, v[0:3], s[2:3] offset:32 th:TH_ATOMIC_RETURN scope:SCOPE_SYS
	s_wait_loadcnt 0x0
	v_cmp_eq_u64_e32 vcc_lo, v[0:1], v[2:3]
	v_mov_b64_e32 v[2:3], v[0:1]
	s_or_b32 s7, vcc_lo, s7
	s_delay_alu instid0(SALU_CYCLE_1)
	s_and_not1_b32 exec_lo, exec_lo, s7
	s_cbranch_execnz .LBB7_704
.LBB7_705:
	s_or_b32 exec_lo, exec_lo, s6
	v_mov_b32_e32 v3, 0
	s_mov_b32 s7, exec_lo
	s_mov_b32 s6, exec_lo
	v_mbcnt_lo_u32_b32 v2, s7, 0
	global_load_b64 v[0:1], v3, s[2:3] offset:16
	s_wait_xcnt 0x0
	v_cmpx_eq_u32_e32 0, v2
	s_cbranch_execz .LBB7_707
; %bb.706:
	s_bcnt1_i32_b32 s7, s7
	s_delay_alu instid0(SALU_CYCLE_1)
	v_mov_b32_e32 v2, s7
	global_wb scope:SCOPE_SYS
	s_wait_loadcnt 0x0
	s_wait_storecnt 0x0
	global_atomic_add_u64 v[0:1], v[2:3], off offset:8 scope:SCOPE_SYS
.LBB7_707:
	s_wait_xcnt 0x0
	s_or_b32 exec_lo, exec_lo, s6
	s_wait_loadcnt 0x0
	global_load_b64 v[2:3], v[0:1], off offset:16
	s_wait_loadcnt 0x0
	v_cmp_eq_u64_e32 vcc_lo, 0, v[2:3]
	s_cbranch_vccnz .LBB7_709
; %bb.708:
	global_load_b32 v0, v[0:1], off offset:24
	s_wait_xcnt 0x0
	v_mov_b32_e32 v1, 0
	s_wait_loadcnt 0x0
	v_readfirstlane_b32 s6, v0
	global_wb scope:SCOPE_SYS
	s_wait_storecnt 0x0
	global_store_b64 v[2:3], v[0:1], off scope:SCOPE_SYS
	s_and_b32 m0, s6, 0xffffff
	s_sendmsg sendmsg(MSG_INTERRUPT)
.LBB7_709:
	s_wait_xcnt 0x0
	s_or_b32 exec_lo, exec_lo, s1
	s_branch .LBB7_713
.LBB7_710:                              ;   in Loop: Header=BB7_713 Depth=1
	s_wait_xcnt 0x0
	s_or_b32 exec_lo, exec_lo, s1
	s_delay_alu instid0(VALU_DEP_1)
	v_readfirstlane_b32 s1, v0
	s_cmp_eq_u32 s1, 0
	s_cbranch_scc1 .LBB7_712
; %bb.711:                              ;   in Loop: Header=BB7_713 Depth=1
	s_sleep 1
	s_cbranch_execnz .LBB7_713
	s_branch .LBB7_715
.LBB7_712:
	s_branch .LBB7_715
.LBB7_713:                              ; =>This Inner Loop Header: Depth=1
	v_mov_b32_e32 v0, 1
	s_and_saveexec_b32 s1, s0
	s_cbranch_execz .LBB7_710
; %bb.714:                              ;   in Loop: Header=BB7_713 Depth=1
	global_load_b32 v0, v[10:11], off offset:20 scope:SCOPE_SYS
	s_wait_loadcnt 0x0
	global_inv scope:SCOPE_SYS
	v_and_b32_e32 v0, 1, v0
	s_branch .LBB7_710
.LBB7_715:
	s_and_saveexec_b32 s6, s0
	s_cbranch_execz .LBB7_719
; %bb.716:
	v_mov_b32_e32 v6, 0
	s_clause 0x2
	global_load_b64 v[0:1], v6, s[2:3] offset:40
	global_load_b64 v[10:11], v6, s[2:3] offset:24 scope:SCOPE_SYS
	global_load_b64 v[2:3], v6, s[2:3]
	s_wait_loadcnt 0x2
	v_readfirstlane_b32 s8, v0
	v_readfirstlane_b32 s9, v1
	s_add_nc_u64 s[0:1], s[8:9], 1
	s_delay_alu instid0(SALU_CYCLE_1) | instskip(NEXT) | instid1(SALU_CYCLE_1)
	s_add_nc_u64 s[4:5], s[0:1], s[4:5]
	s_cmp_eq_u64 s[4:5], 0
	s_cselect_b32 s1, s1, s5
	s_cselect_b32 s0, s0, s4
	v_mov_b32_e32 v9, s1
	s_and_b64 s[4:5], s[0:1], s[8:9]
	v_mov_b32_e32 v8, s0
	s_mul_u64 s[4:5], s[4:5], 24
	s_wait_loadcnt 0x0
	v_add_nc_u64_e32 v[4:5], s[4:5], v[2:3]
	global_store_b64 v[4:5], v[10:11], off
	global_wb scope:SCOPE_SYS
	s_wait_storecnt 0x0
	s_wait_xcnt 0x0
	global_atomic_cmpswap_b64 v[2:3], v6, v[8:11], s[2:3] offset:24 th:TH_ATOMIC_RETURN scope:SCOPE_SYS
	s_wait_loadcnt 0x0
	v_cmp_ne_u64_e32 vcc_lo, v[2:3], v[10:11]
	s_and_b32 exec_lo, exec_lo, vcc_lo
	s_cbranch_execz .LBB7_719
; %bb.717:
	s_mov_b32 s4, 0
.LBB7_718:                              ; =>This Inner Loop Header: Depth=1
	v_dual_mov_b32 v0, s0 :: v_dual_mov_b32 v1, s1
	s_sleep 1
	global_store_b64 v[4:5], v[2:3], off
	global_wb scope:SCOPE_SYS
	s_wait_storecnt 0x0
	s_wait_xcnt 0x0
	global_atomic_cmpswap_b64 v[0:1], v6, v[0:3], s[2:3] offset:24 th:TH_ATOMIC_RETURN scope:SCOPE_SYS
	s_wait_loadcnt 0x0
	v_cmp_eq_u64_e32 vcc_lo, v[0:1], v[2:3]
	v_mov_b64_e32 v[2:3], v[0:1]
	s_or_b32 s4, vcc_lo, s4
	s_delay_alu instid0(SALU_CYCLE_1)
	s_and_not1_b32 exec_lo, exec_lo, s4
	s_cbranch_execnz .LBB7_718
.LBB7_719:
	s_or_b32 exec_lo, exec_lo, s6
.LBB7_720:
	s_get_pc_i64 s[0:1]
	s_add_nc_u64 s[0:1], s[0:1], .str.29@rel64+4
	s_get_pc_i64 s[2:3]
	s_add_nc_u64 s[2:3], s[2:3], .str.19@rel64+4
	s_get_pc_i64 s[4:5]
	s_add_nc_u64 s[4:5], s[4:5], __PRETTY_FUNCTION__._ZN7VecsMemIjLi8192EE5fetchEi@rel64+4
	v_dual_mov_b32 v0, s0 :: v_dual_mov_b32 v1, s1
	s_wait_loadcnt 0x0
	v_dual_mov_b32 v2, s2 :: v_dual_mov_b32 v3, s3
	v_dual_mov_b32 v4, 12 :: v_dual_mov_b32 v5, s4
	v_mov_b32_e32 v6, s5
	s_get_pc_i64 s[6:7]
	s_add_nc_u64 s[6:7], s[6:7], __assert_fail@rel64+4
	s_mov_b64 s[8:9], s[50:51]
	s_swap_pc_i64 s[30:31], s[6:7]
	s_or_b32 s17, s17, exec_lo
	s_or_b32 exec_lo, exec_lo, s39
	s_and_saveexec_b32 s0, s38
	s_delay_alu instid0(SALU_CYCLE_1)
	s_xor_b32 s38, exec_lo, s0
	s_cbranch_execz .LBB7_345
.LBB7_721:
	s_get_pc_i64 s[0:1]
	s_add_nc_u64 s[0:1], s[0:1], .str.18@rel64+4
	s_get_pc_i64 s[2:3]
	s_add_nc_u64 s[2:3], s[2:3], .str.19@rel64+4
	s_get_pc_i64 s[4:5]
	s_add_nc_u64 s[4:5], s[4:5], __PRETTY_FUNCTION__._ZN7VecsMemIjLi8192EE6shrinkEi@rel64+4
	v_dual_mov_b32 v0, s0 :: v_dual_mov_b32 v1, s1
	v_dual_mov_b32 v2, s2 :: v_dual_mov_b32 v3, s3
	v_dual_mov_b32 v4, 20 :: v_dual_mov_b32 v5, s4
	s_wait_loadcnt 0x0
	v_mov_b32_e32 v6, s5
	s_get_pc_i64 s[6:7]
	s_add_nc_u64 s[6:7], s[6:7], __assert_fail@rel64+4
	s_mov_b64 s[8:9], s[50:51]
	s_swap_pc_i64 s[30:31], s[6:7]
	s_or_b32 s17, s17, exec_lo
	s_or_b32 exec_lo, exec_lo, s38
	s_and_saveexec_b32 s0, s37
	s_delay_alu instid0(SALU_CYCLE_1)
	s_xor_b32 s37, exec_lo, s0
	s_cbranch_execz .LBB7_346
.LBB7_722:
	s_get_pc_i64 s[0:1]
	s_add_nc_u64 s[0:1], s[0:1], .str.18@rel64+4
	s_get_pc_i64 s[2:3]
	s_add_nc_u64 s[2:3], s[2:3], .str.19@rel64+4
	s_get_pc_i64 s[4:5]
	s_add_nc_u64 s[4:5], s[4:5], __PRETTY_FUNCTION__._ZN7VecsMemIjLi8192EE6shrinkEi@rel64+4
	v_dual_mov_b32 v0, s0 :: v_dual_mov_b32 v1, s1
	v_dual_mov_b32 v2, s2 :: v_dual_mov_b32 v3, s3
	;; [unrolled: 1-line block ×3, first 2 shown]
	s_wait_loadcnt 0x0
	v_mov_b32_e32 v6, s5
	s_get_pc_i64 s[6:7]
	s_add_nc_u64 s[6:7], s[6:7], __assert_fail@rel64+4
	s_mov_b64 s[8:9], s[50:51]
	s_swap_pc_i64 s[30:31], s[6:7]
	s_or_b32 s17, s17, exec_lo
	s_or_b32 exec_lo, exec_lo, s37
	s_and_saveexec_b32 s0, s36
	s_delay_alu instid0(SALU_CYCLE_1)
	s_xor_b32 s36, exec_lo, s0
	s_cbranch_execnz .LBB7_347
	s_branch .LBB7_348
.LBB7_723:
	s_cbranch_execz .LBB7_751
; %bb.724:
	v_readfirstlane_b32 s0, v32
	s_wait_loadcnt 0x0
	v_mov_b64_e32 v[10:11], 0
	s_delay_alu instid0(VALU_DEP_2)
	v_cmp_eq_u32_e64 s0, s0, v32
	s_and_saveexec_b32 s1, s0
	s_cbranch_execz .LBB7_730
; %bb.725:
	v_mov_b32_e32 v1, 0
	s_mov_b32 s4, exec_lo
	global_load_b64 v[6:7], v1, s[2:3] offset:24 scope:SCOPE_SYS
	s_wait_loadcnt 0x0
	global_inv scope:SCOPE_SYS
	s_clause 0x1
	global_load_b64 v[4:5], v1, s[2:3] offset:40
	global_load_b64 v[8:9], v1, s[2:3]
	s_wait_loadcnt 0x1
	v_and_b32_e32 v4, v4, v6
	v_and_b32_e32 v5, v5, v7
	s_delay_alu instid0(VALU_DEP_1) | instskip(SKIP_1) | instid1(VALU_DEP_1)
	v_mul_u64_e32 v[4:5], 24, v[4:5]
	s_wait_loadcnt 0x0
	v_add_nc_u64_e32 v[4:5], v[8:9], v[4:5]
	global_load_b64 v[4:5], v[4:5], off scope:SCOPE_SYS
	s_wait_xcnt 0x0
	s_wait_loadcnt 0x0
	global_atomic_cmpswap_b64 v[10:11], v1, v[4:7], s[2:3] offset:24 th:TH_ATOMIC_RETURN scope:SCOPE_SYS
	s_wait_loadcnt 0x0
	global_inv scope:SCOPE_SYS
	s_wait_xcnt 0x0
	v_cmpx_ne_u64_e64 v[10:11], v[6:7]
	s_cbranch_execz .LBB7_729
; %bb.726:
	s_mov_b32 s5, 0
.LBB7_727:                              ; =>This Inner Loop Header: Depth=1
	s_sleep 1
	s_clause 0x1
	global_load_b64 v[4:5], v1, s[2:3] offset:40
	global_load_b64 v[8:9], v1, s[2:3]
	v_mov_b64_e32 v[6:7], v[10:11]
	s_wait_loadcnt 0x1
	s_delay_alu instid0(VALU_DEP_1) | instskip(SKIP_1) | instid1(VALU_DEP_1)
	v_and_b32_e32 v4, v4, v6
	s_wait_loadcnt 0x0
	v_mad_nc_u64_u32 v[8:9], v4, 24, v[8:9]
	s_delay_alu instid0(VALU_DEP_3) | instskip(NEXT) | instid1(VALU_DEP_1)
	v_and_b32_e32 v4, v5, v7
	v_mad_u32 v9, v4, 24, v9
	global_load_b64 v[4:5], v[8:9], off scope:SCOPE_SYS
	s_wait_xcnt 0x0
	s_wait_loadcnt 0x0
	global_atomic_cmpswap_b64 v[10:11], v1, v[4:7], s[2:3] offset:24 th:TH_ATOMIC_RETURN scope:SCOPE_SYS
	s_wait_loadcnt 0x0
	global_inv scope:SCOPE_SYS
	v_cmp_eq_u64_e32 vcc_lo, v[10:11], v[6:7]
	s_or_b32 s5, vcc_lo, s5
	s_wait_xcnt 0x0
	s_and_not1_b32 exec_lo, exec_lo, s5
	s_cbranch_execnz .LBB7_727
; %bb.728:
	s_or_b32 exec_lo, exec_lo, s5
.LBB7_729:
	s_delay_alu instid0(SALU_CYCLE_1)
	s_or_b32 exec_lo, exec_lo, s4
.LBB7_730:
	s_delay_alu instid0(SALU_CYCLE_1)
	s_or_b32 exec_lo, exec_lo, s1
	v_readfirstlane_b32 s4, v10
	v_mov_b32_e32 v4, 0
	v_readfirstlane_b32 s5, v11
	s_mov_b32 s1, exec_lo
	s_clause 0x1
	global_load_b64 v[12:13], v4, s[2:3] offset:40
	global_load_b128 v[6:9], v4, s[2:3]
	s_wait_loadcnt 0x1
	v_and_b32_e32 v12, s4, v12
	v_and_b32_e32 v13, s5, v13
	s_delay_alu instid0(VALU_DEP_1) | instskip(SKIP_1) | instid1(VALU_DEP_1)
	v_mul_u64_e32 v[10:11], 24, v[12:13]
	s_wait_loadcnt 0x0
	v_add_nc_u64_e32 v[10:11], v[6:7], v[10:11]
	s_wait_xcnt 0x0
	s_and_saveexec_b32 s6, s0
	s_cbranch_execz .LBB7_732
; %bb.731:
	v_mov_b64_e32 v[16:17], 0x100000002
	v_dual_mov_b32 v14, s1 :: v_dual_mov_b32 v15, v4
	global_store_b128 v[10:11], v[14:17], off offset:8
.LBB7_732:
	s_wait_xcnt 0x0
	s_or_b32 exec_lo, exec_lo, s6
	v_lshlrev_b64_e32 v[12:13], 12, v[12:13]
	s_mov_b32 s8, 0
	v_and_or_b32 v2, 0xffffff1d, v2, 34
	s_mov_b32 s10, s8
	s_mov_b32 s11, s8
	;; [unrolled: 1-line block ×3, first 2 shown]
	v_mov_b32_e32 v5, v4
	v_add_nc_u64_e32 v[8:9], v[8:9], v[12:13]
	v_mov_b64_e32 v[14:15], s[10:11]
	v_mov_b64_e32 v[12:13], s[8:9]
	s_delay_alu instid0(VALU_DEP_3) | instskip(NEXT) | instid1(VALU_DEP_4)
	v_readfirstlane_b32 s6, v8
	v_readfirstlane_b32 s7, v9
	s_clause 0x3
	global_store_b128 v0, v[2:5], s[6:7]
	global_store_b128 v0, v[12:15], s[6:7] offset:16
	global_store_b128 v0, v[12:15], s[6:7] offset:32
	;; [unrolled: 1-line block ×3, first 2 shown]
	s_wait_xcnt 0x0
	s_and_saveexec_b32 s1, s0
	s_cbranch_execz .LBB7_740
; %bb.733:
	v_dual_mov_b32 v8, 0 :: v_dual_mov_b32 v13, s5
	s_mov_b32 s6, exec_lo
	s_clause 0x1
	global_load_b64 v[14:15], v8, s[2:3] offset:32 scope:SCOPE_SYS
	global_load_b64 v[0:1], v8, s[2:3] offset:40
	s_wait_loadcnt 0x0
	v_dual_mov_b32 v12, s4 :: v_dual_bitop2_b32 v1, s5, v1 bitop3:0x40
	v_and_b32_e32 v0, s4, v0
	s_delay_alu instid0(VALU_DEP_1) | instskip(NEXT) | instid1(VALU_DEP_1)
	v_mul_u64_e32 v[0:1], 24, v[0:1]
	v_add_nc_u64_e32 v[4:5], v[6:7], v[0:1]
	global_store_b64 v[4:5], v[14:15], off
	global_wb scope:SCOPE_SYS
	s_wait_storecnt 0x0
	s_wait_xcnt 0x0
	global_atomic_cmpswap_b64 v[2:3], v8, v[12:15], s[2:3] offset:32 th:TH_ATOMIC_RETURN scope:SCOPE_SYS
	s_wait_loadcnt 0x0
	v_cmpx_ne_u64_e64 v[2:3], v[14:15]
	s_cbranch_execz .LBB7_736
; %bb.734:
	s_mov_b32 s7, 0
.LBB7_735:                              ; =>This Inner Loop Header: Depth=1
	v_dual_mov_b32 v0, s4 :: v_dual_mov_b32 v1, s5
	s_sleep 1
	global_store_b64 v[4:5], v[2:3], off
	global_wb scope:SCOPE_SYS
	s_wait_storecnt 0x0
	s_wait_xcnt 0x0
	global_atomic_cmpswap_b64 v[0:1], v8, v[0:3], s[2:3] offset:32 th:TH_ATOMIC_RETURN scope:SCOPE_SYS
	s_wait_loadcnt 0x0
	v_cmp_eq_u64_e32 vcc_lo, v[0:1], v[2:3]
	v_mov_b64_e32 v[2:3], v[0:1]
	s_or_b32 s7, vcc_lo, s7
	s_delay_alu instid0(SALU_CYCLE_1)
	s_and_not1_b32 exec_lo, exec_lo, s7
	s_cbranch_execnz .LBB7_735
.LBB7_736:
	s_or_b32 exec_lo, exec_lo, s6
	v_mov_b32_e32 v3, 0
	s_mov_b32 s7, exec_lo
	s_mov_b32 s6, exec_lo
	v_mbcnt_lo_u32_b32 v2, s7, 0
	global_load_b64 v[0:1], v3, s[2:3] offset:16
	s_wait_xcnt 0x0
	v_cmpx_eq_u32_e32 0, v2
	s_cbranch_execz .LBB7_738
; %bb.737:
	s_bcnt1_i32_b32 s7, s7
	s_delay_alu instid0(SALU_CYCLE_1)
	v_mov_b32_e32 v2, s7
	global_wb scope:SCOPE_SYS
	s_wait_loadcnt 0x0
	s_wait_storecnt 0x0
	global_atomic_add_u64 v[0:1], v[2:3], off offset:8 scope:SCOPE_SYS
.LBB7_738:
	s_wait_xcnt 0x0
	s_or_b32 exec_lo, exec_lo, s6
	s_wait_loadcnt 0x0
	global_load_b64 v[2:3], v[0:1], off offset:16
	s_wait_loadcnt 0x0
	v_cmp_eq_u64_e32 vcc_lo, 0, v[2:3]
	s_cbranch_vccnz .LBB7_740
; %bb.739:
	global_load_b32 v0, v[0:1], off offset:24
	s_wait_xcnt 0x0
	v_mov_b32_e32 v1, 0
	s_wait_loadcnt 0x0
	v_readfirstlane_b32 s6, v0
	global_wb scope:SCOPE_SYS
	s_wait_storecnt 0x0
	global_store_b64 v[2:3], v[0:1], off scope:SCOPE_SYS
	s_and_b32 m0, s6, 0xffffff
	s_sendmsg sendmsg(MSG_INTERRUPT)
.LBB7_740:
	s_wait_xcnt 0x0
	s_or_b32 exec_lo, exec_lo, s1
	s_branch .LBB7_744
.LBB7_741:                              ;   in Loop: Header=BB7_744 Depth=1
	s_wait_xcnt 0x0
	s_or_b32 exec_lo, exec_lo, s1
	s_delay_alu instid0(VALU_DEP_1)
	v_readfirstlane_b32 s1, v0
	s_cmp_eq_u32 s1, 0
	s_cbranch_scc1 .LBB7_743
; %bb.742:                              ;   in Loop: Header=BB7_744 Depth=1
	s_sleep 1
	s_cbranch_execnz .LBB7_744
	s_branch .LBB7_746
.LBB7_743:
	s_branch .LBB7_746
.LBB7_744:                              ; =>This Inner Loop Header: Depth=1
	v_mov_b32_e32 v0, 1
	s_and_saveexec_b32 s1, s0
	s_cbranch_execz .LBB7_741
; %bb.745:                              ;   in Loop: Header=BB7_744 Depth=1
	global_load_b32 v0, v[10:11], off offset:20 scope:SCOPE_SYS
	s_wait_loadcnt 0x0
	global_inv scope:SCOPE_SYS
	v_and_b32_e32 v0, 1, v0
	s_branch .LBB7_741
.LBB7_746:
	s_and_saveexec_b32 s6, s0
	s_cbranch_execz .LBB7_750
; %bb.747:
	v_mov_b32_e32 v6, 0
	s_clause 0x2
	global_load_b64 v[0:1], v6, s[2:3] offset:40
	global_load_b64 v[10:11], v6, s[2:3] offset:24 scope:SCOPE_SYS
	global_load_b64 v[2:3], v6, s[2:3]
	s_wait_loadcnt 0x2
	v_readfirstlane_b32 s8, v0
	v_readfirstlane_b32 s9, v1
	s_add_nc_u64 s[0:1], s[8:9], 1
	s_delay_alu instid0(SALU_CYCLE_1) | instskip(NEXT) | instid1(SALU_CYCLE_1)
	s_add_nc_u64 s[4:5], s[0:1], s[4:5]
	s_cmp_eq_u64 s[4:5], 0
	s_cselect_b32 s1, s1, s5
	s_cselect_b32 s0, s0, s4
	v_mov_b32_e32 v9, s1
	s_and_b64 s[4:5], s[0:1], s[8:9]
	v_mov_b32_e32 v8, s0
	s_mul_u64 s[4:5], s[4:5], 24
	s_wait_loadcnt 0x0
	v_add_nc_u64_e32 v[4:5], s[4:5], v[2:3]
	global_store_b64 v[4:5], v[10:11], off
	global_wb scope:SCOPE_SYS
	s_wait_storecnt 0x0
	s_wait_xcnt 0x0
	global_atomic_cmpswap_b64 v[2:3], v6, v[8:11], s[2:3] offset:24 th:TH_ATOMIC_RETURN scope:SCOPE_SYS
	s_wait_loadcnt 0x0
	v_cmp_ne_u64_e32 vcc_lo, v[2:3], v[10:11]
	s_and_b32 exec_lo, exec_lo, vcc_lo
	s_cbranch_execz .LBB7_750
; %bb.748:
	s_mov_b32 s4, 0
.LBB7_749:                              ; =>This Inner Loop Header: Depth=1
	v_dual_mov_b32 v0, s0 :: v_dual_mov_b32 v1, s1
	s_sleep 1
	global_store_b64 v[4:5], v[2:3], off
	global_wb scope:SCOPE_SYS
	s_wait_storecnt 0x0
	s_wait_xcnt 0x0
	global_atomic_cmpswap_b64 v[0:1], v6, v[0:3], s[2:3] offset:24 th:TH_ATOMIC_RETURN scope:SCOPE_SYS
	s_wait_loadcnt 0x0
	v_cmp_eq_u64_e32 vcc_lo, v[0:1], v[2:3]
	v_mov_b64_e32 v[2:3], v[0:1]
	s_or_b32 s4, vcc_lo, s4
	s_delay_alu instid0(SALU_CYCLE_1)
	s_and_not1_b32 exec_lo, exec_lo, s4
	s_cbranch_execnz .LBB7_749
.LBB7_750:
	s_or_b32 exec_lo, exec_lo, s6
.LBB7_751:
	s_get_pc_i64 s[0:1]
	s_add_nc_u64 s[0:1], s[0:1], .str.29@rel64+4
	s_get_pc_i64 s[2:3]
	s_add_nc_u64 s[2:3], s[2:3], .str.19@rel64+4
	s_get_pc_i64 s[4:5]
	s_add_nc_u64 s[4:5], s[4:5], __PRETTY_FUNCTION__._ZN7VecsMemIjLi8192EE5fetchEi@rel64+4
	v_dual_mov_b32 v0, s0 :: v_dual_mov_b32 v1, s1
	s_wait_loadcnt 0x0
	v_dual_mov_b32 v2, s2 :: v_dual_mov_b32 v3, s3
	v_dual_mov_b32 v4, 12 :: v_dual_mov_b32 v5, s4
	v_mov_b32_e32 v6, s5
	s_get_pc_i64 s[6:7]
	s_add_nc_u64 s[6:7], s[6:7], __assert_fail@rel64+4
	s_mov_b64 s[8:9], s[50:51]
	s_swap_pc_i64 s[30:31], s[6:7]
	s_or_b32 s17, s17, exec_lo
	s_or_b32 exec_lo, exec_lo, s36
	s_and_saveexec_b32 s0, s34
	s_delay_alu instid0(SALU_CYCLE_1)
	s_xor_b32 s34, exec_lo, s0
	s_cbranch_execz .LBB7_350
.LBB7_752:
	s_get_pc_i64 s[0:1]
	s_add_nc_u64 s[0:1], s[0:1], .str.18@rel64+4
	s_get_pc_i64 s[2:3]
	s_add_nc_u64 s[2:3], s[2:3], .str.19@rel64+4
	s_get_pc_i64 s[4:5]
	s_add_nc_u64 s[4:5], s[4:5], __PRETTY_FUNCTION__._ZN7VecsMemIjLi8192EE6shrinkEi@rel64+4
	v_dual_mov_b32 v0, s0 :: v_dual_mov_b32 v1, s1
	v_dual_mov_b32 v2, s2 :: v_dual_mov_b32 v3, s3
	;; [unrolled: 1-line block ×3, first 2 shown]
	s_wait_loadcnt 0x0
	v_mov_b32_e32 v6, s5
	s_get_pc_i64 s[6:7]
	s_add_nc_u64 s[6:7], s[6:7], __assert_fail@rel64+4
	s_mov_b64 s[8:9], s[50:51]
	s_swap_pc_i64 s[30:31], s[6:7]
	s_or_b32 s17, s17, exec_lo
	s_or_b32 exec_lo, exec_lo, s34
	s_and_saveexec_b32 s0, s29
	s_delay_alu instid0(SALU_CYCLE_1)
	s_xor_b32 s29, exec_lo, s0
	s_cbranch_execnz .LBB7_351
	s_branch .LBB7_352
.LBB7_753:
	s_cbranch_execz .LBB7_781
; %bb.754:
	v_readfirstlane_b32 s0, v32
	s_wait_loadcnt 0x0
	v_mov_b64_e32 v[10:11], 0
	s_delay_alu instid0(VALU_DEP_2)
	v_cmp_eq_u32_e64 s0, s0, v32
	s_and_saveexec_b32 s1, s0
	s_cbranch_execz .LBB7_760
; %bb.755:
	v_mov_b32_e32 v1, 0
	s_mov_b32 s4, exec_lo
	global_load_b64 v[6:7], v1, s[2:3] offset:24 scope:SCOPE_SYS
	s_wait_loadcnt 0x0
	global_inv scope:SCOPE_SYS
	s_clause 0x1
	global_load_b64 v[4:5], v1, s[2:3] offset:40
	global_load_b64 v[8:9], v1, s[2:3]
	s_wait_loadcnt 0x1
	v_and_b32_e32 v4, v4, v6
	v_and_b32_e32 v5, v5, v7
	s_delay_alu instid0(VALU_DEP_1) | instskip(SKIP_1) | instid1(VALU_DEP_1)
	v_mul_u64_e32 v[4:5], 24, v[4:5]
	s_wait_loadcnt 0x0
	v_add_nc_u64_e32 v[4:5], v[8:9], v[4:5]
	global_load_b64 v[4:5], v[4:5], off scope:SCOPE_SYS
	s_wait_xcnt 0x0
	s_wait_loadcnt 0x0
	global_atomic_cmpswap_b64 v[10:11], v1, v[4:7], s[2:3] offset:24 th:TH_ATOMIC_RETURN scope:SCOPE_SYS
	s_wait_loadcnt 0x0
	global_inv scope:SCOPE_SYS
	s_wait_xcnt 0x0
	v_cmpx_ne_u64_e64 v[10:11], v[6:7]
	s_cbranch_execz .LBB7_759
; %bb.756:
	s_mov_b32 s5, 0
.LBB7_757:                              ; =>This Inner Loop Header: Depth=1
	s_sleep 1
	s_clause 0x1
	global_load_b64 v[4:5], v1, s[2:3] offset:40
	global_load_b64 v[8:9], v1, s[2:3]
	v_mov_b64_e32 v[6:7], v[10:11]
	s_wait_loadcnt 0x1
	s_delay_alu instid0(VALU_DEP_1) | instskip(SKIP_1) | instid1(VALU_DEP_1)
	v_and_b32_e32 v4, v4, v6
	s_wait_loadcnt 0x0
	v_mad_nc_u64_u32 v[8:9], v4, 24, v[8:9]
	s_delay_alu instid0(VALU_DEP_3) | instskip(NEXT) | instid1(VALU_DEP_1)
	v_and_b32_e32 v4, v5, v7
	v_mad_u32 v9, v4, 24, v9
	global_load_b64 v[4:5], v[8:9], off scope:SCOPE_SYS
	s_wait_xcnt 0x0
	s_wait_loadcnt 0x0
	global_atomic_cmpswap_b64 v[10:11], v1, v[4:7], s[2:3] offset:24 th:TH_ATOMIC_RETURN scope:SCOPE_SYS
	s_wait_loadcnt 0x0
	global_inv scope:SCOPE_SYS
	v_cmp_eq_u64_e32 vcc_lo, v[10:11], v[6:7]
	s_or_b32 s5, vcc_lo, s5
	s_wait_xcnt 0x0
	s_and_not1_b32 exec_lo, exec_lo, s5
	s_cbranch_execnz .LBB7_757
; %bb.758:
	s_or_b32 exec_lo, exec_lo, s5
.LBB7_759:
	s_delay_alu instid0(SALU_CYCLE_1)
	s_or_b32 exec_lo, exec_lo, s4
.LBB7_760:
	s_delay_alu instid0(SALU_CYCLE_1)
	s_or_b32 exec_lo, exec_lo, s1
	v_readfirstlane_b32 s4, v10
	v_mov_b32_e32 v4, 0
	v_readfirstlane_b32 s5, v11
	s_mov_b32 s1, exec_lo
	s_clause 0x1
	global_load_b64 v[12:13], v4, s[2:3] offset:40
	global_load_b128 v[6:9], v4, s[2:3]
	s_wait_loadcnt 0x1
	v_and_b32_e32 v12, s4, v12
	v_and_b32_e32 v13, s5, v13
	s_delay_alu instid0(VALU_DEP_1) | instskip(SKIP_1) | instid1(VALU_DEP_1)
	v_mul_u64_e32 v[10:11], 24, v[12:13]
	s_wait_loadcnt 0x0
	v_add_nc_u64_e32 v[10:11], v[6:7], v[10:11]
	s_wait_xcnt 0x0
	s_and_saveexec_b32 s6, s0
	s_cbranch_execz .LBB7_762
; %bb.761:
	v_mov_b64_e32 v[16:17], 0x100000002
	v_dual_mov_b32 v14, s1 :: v_dual_mov_b32 v15, v4
	global_store_b128 v[10:11], v[14:17], off offset:8
.LBB7_762:
	s_wait_xcnt 0x0
	s_or_b32 exec_lo, exec_lo, s6
	v_lshlrev_b64_e32 v[12:13], 12, v[12:13]
	s_mov_b32 s8, 0
	v_and_or_b32 v2, 0xffffff1d, v2, 34
	s_mov_b32 s10, s8
	s_mov_b32 s11, s8
	;; [unrolled: 1-line block ×3, first 2 shown]
	v_mov_b32_e32 v5, v4
	v_add_nc_u64_e32 v[8:9], v[8:9], v[12:13]
	v_mov_b64_e32 v[14:15], s[10:11]
	v_mov_b64_e32 v[12:13], s[8:9]
	s_delay_alu instid0(VALU_DEP_3) | instskip(NEXT) | instid1(VALU_DEP_4)
	v_readfirstlane_b32 s6, v8
	v_readfirstlane_b32 s7, v9
	s_clause 0x3
	global_store_b128 v0, v[2:5], s[6:7]
	global_store_b128 v0, v[12:15], s[6:7] offset:16
	global_store_b128 v0, v[12:15], s[6:7] offset:32
	global_store_b128 v0, v[12:15], s[6:7] offset:48
	s_wait_xcnt 0x0
	s_and_saveexec_b32 s1, s0
	s_cbranch_execz .LBB7_770
; %bb.763:
	v_dual_mov_b32 v8, 0 :: v_dual_mov_b32 v13, s5
	s_mov_b32 s6, exec_lo
	s_clause 0x1
	global_load_b64 v[14:15], v8, s[2:3] offset:32 scope:SCOPE_SYS
	global_load_b64 v[0:1], v8, s[2:3] offset:40
	s_wait_loadcnt 0x0
	v_dual_mov_b32 v12, s4 :: v_dual_bitop2_b32 v1, s5, v1 bitop3:0x40
	v_and_b32_e32 v0, s4, v0
	s_delay_alu instid0(VALU_DEP_1) | instskip(NEXT) | instid1(VALU_DEP_1)
	v_mul_u64_e32 v[0:1], 24, v[0:1]
	v_add_nc_u64_e32 v[4:5], v[6:7], v[0:1]
	global_store_b64 v[4:5], v[14:15], off
	global_wb scope:SCOPE_SYS
	s_wait_storecnt 0x0
	s_wait_xcnt 0x0
	global_atomic_cmpswap_b64 v[2:3], v8, v[12:15], s[2:3] offset:32 th:TH_ATOMIC_RETURN scope:SCOPE_SYS
	s_wait_loadcnt 0x0
	v_cmpx_ne_u64_e64 v[2:3], v[14:15]
	s_cbranch_execz .LBB7_766
; %bb.764:
	s_mov_b32 s7, 0
.LBB7_765:                              ; =>This Inner Loop Header: Depth=1
	v_dual_mov_b32 v0, s4 :: v_dual_mov_b32 v1, s5
	s_sleep 1
	global_store_b64 v[4:5], v[2:3], off
	global_wb scope:SCOPE_SYS
	s_wait_storecnt 0x0
	s_wait_xcnt 0x0
	global_atomic_cmpswap_b64 v[0:1], v8, v[0:3], s[2:3] offset:32 th:TH_ATOMIC_RETURN scope:SCOPE_SYS
	s_wait_loadcnt 0x0
	v_cmp_eq_u64_e32 vcc_lo, v[0:1], v[2:3]
	v_mov_b64_e32 v[2:3], v[0:1]
	s_or_b32 s7, vcc_lo, s7
	s_delay_alu instid0(SALU_CYCLE_1)
	s_and_not1_b32 exec_lo, exec_lo, s7
	s_cbranch_execnz .LBB7_765
.LBB7_766:
	s_or_b32 exec_lo, exec_lo, s6
	v_mov_b32_e32 v3, 0
	s_mov_b32 s7, exec_lo
	s_mov_b32 s6, exec_lo
	v_mbcnt_lo_u32_b32 v2, s7, 0
	global_load_b64 v[0:1], v3, s[2:3] offset:16
	s_wait_xcnt 0x0
	v_cmpx_eq_u32_e32 0, v2
	s_cbranch_execz .LBB7_768
; %bb.767:
	s_bcnt1_i32_b32 s7, s7
	s_delay_alu instid0(SALU_CYCLE_1)
	v_mov_b32_e32 v2, s7
	global_wb scope:SCOPE_SYS
	s_wait_loadcnt 0x0
	s_wait_storecnt 0x0
	global_atomic_add_u64 v[0:1], v[2:3], off offset:8 scope:SCOPE_SYS
.LBB7_768:
	s_wait_xcnt 0x0
	s_or_b32 exec_lo, exec_lo, s6
	s_wait_loadcnt 0x0
	global_load_b64 v[2:3], v[0:1], off offset:16
	s_wait_loadcnt 0x0
	v_cmp_eq_u64_e32 vcc_lo, 0, v[2:3]
	s_cbranch_vccnz .LBB7_770
; %bb.769:
	global_load_b32 v0, v[0:1], off offset:24
	s_wait_xcnt 0x0
	v_mov_b32_e32 v1, 0
	s_wait_loadcnt 0x0
	v_readfirstlane_b32 s6, v0
	global_wb scope:SCOPE_SYS
	s_wait_storecnt 0x0
	global_store_b64 v[2:3], v[0:1], off scope:SCOPE_SYS
	s_and_b32 m0, s6, 0xffffff
	s_sendmsg sendmsg(MSG_INTERRUPT)
.LBB7_770:
	s_wait_xcnt 0x0
	s_or_b32 exec_lo, exec_lo, s1
	s_branch .LBB7_774
.LBB7_771:                              ;   in Loop: Header=BB7_774 Depth=1
	s_wait_xcnt 0x0
	s_or_b32 exec_lo, exec_lo, s1
	s_delay_alu instid0(VALU_DEP_1)
	v_readfirstlane_b32 s1, v0
	s_cmp_eq_u32 s1, 0
	s_cbranch_scc1 .LBB7_773
; %bb.772:                              ;   in Loop: Header=BB7_774 Depth=1
	s_sleep 1
	s_cbranch_execnz .LBB7_774
	s_branch .LBB7_776
.LBB7_773:
	s_branch .LBB7_776
.LBB7_774:                              ; =>This Inner Loop Header: Depth=1
	v_mov_b32_e32 v0, 1
	s_and_saveexec_b32 s1, s0
	s_cbranch_execz .LBB7_771
; %bb.775:                              ;   in Loop: Header=BB7_774 Depth=1
	global_load_b32 v0, v[10:11], off offset:20 scope:SCOPE_SYS
	s_wait_loadcnt 0x0
	global_inv scope:SCOPE_SYS
	v_and_b32_e32 v0, 1, v0
	s_branch .LBB7_771
.LBB7_776:
	s_and_saveexec_b32 s6, s0
	s_cbranch_execz .LBB7_780
; %bb.777:
	v_mov_b32_e32 v6, 0
	s_clause 0x2
	global_load_b64 v[0:1], v6, s[2:3] offset:40
	global_load_b64 v[10:11], v6, s[2:3] offset:24 scope:SCOPE_SYS
	global_load_b64 v[2:3], v6, s[2:3]
	s_wait_loadcnt 0x2
	v_readfirstlane_b32 s8, v0
	v_readfirstlane_b32 s9, v1
	s_add_nc_u64 s[0:1], s[8:9], 1
	s_delay_alu instid0(SALU_CYCLE_1) | instskip(NEXT) | instid1(SALU_CYCLE_1)
	s_add_nc_u64 s[4:5], s[0:1], s[4:5]
	s_cmp_eq_u64 s[4:5], 0
	s_cselect_b32 s1, s1, s5
	s_cselect_b32 s0, s0, s4
	v_mov_b32_e32 v9, s1
	s_and_b64 s[4:5], s[0:1], s[8:9]
	v_mov_b32_e32 v8, s0
	s_mul_u64 s[4:5], s[4:5], 24
	s_wait_loadcnt 0x0
	v_add_nc_u64_e32 v[4:5], s[4:5], v[2:3]
	global_store_b64 v[4:5], v[10:11], off
	global_wb scope:SCOPE_SYS
	s_wait_storecnt 0x0
	s_wait_xcnt 0x0
	global_atomic_cmpswap_b64 v[2:3], v6, v[8:11], s[2:3] offset:24 th:TH_ATOMIC_RETURN scope:SCOPE_SYS
	s_wait_loadcnt 0x0
	v_cmp_ne_u64_e32 vcc_lo, v[2:3], v[10:11]
	s_and_b32 exec_lo, exec_lo, vcc_lo
	s_cbranch_execz .LBB7_780
; %bb.778:
	s_mov_b32 s4, 0
.LBB7_779:                              ; =>This Inner Loop Header: Depth=1
	v_dual_mov_b32 v0, s0 :: v_dual_mov_b32 v1, s1
	s_sleep 1
	global_store_b64 v[4:5], v[2:3], off
	global_wb scope:SCOPE_SYS
	s_wait_storecnt 0x0
	s_wait_xcnt 0x0
	global_atomic_cmpswap_b64 v[0:1], v6, v[0:3], s[2:3] offset:24 th:TH_ATOMIC_RETURN scope:SCOPE_SYS
	s_wait_loadcnt 0x0
	v_cmp_eq_u64_e32 vcc_lo, v[0:1], v[2:3]
	v_mov_b64_e32 v[2:3], v[0:1]
	s_or_b32 s4, vcc_lo, s4
	s_delay_alu instid0(SALU_CYCLE_1)
	s_and_not1_b32 exec_lo, exec_lo, s4
	s_cbranch_execnz .LBB7_779
.LBB7_780:
	s_or_b32 exec_lo, exec_lo, s6
.LBB7_781:
	s_get_pc_i64 s[0:1]
	s_add_nc_u64 s[0:1], s[0:1], .str.29@rel64+4
	s_get_pc_i64 s[2:3]
	s_add_nc_u64 s[2:3], s[2:3], .str.19@rel64+4
	s_get_pc_i64 s[4:5]
	s_add_nc_u64 s[4:5], s[4:5], __PRETTY_FUNCTION__._ZN7VecsMemIjLi8192EE5fetchEi@rel64+4
	v_dual_mov_b32 v0, s0 :: v_dual_mov_b32 v1, s1
	s_wait_loadcnt 0x0
	v_dual_mov_b32 v2, s2 :: v_dual_mov_b32 v3, s3
	v_dual_mov_b32 v4, 12 :: v_dual_mov_b32 v5, s4
	v_mov_b32_e32 v6, s5
	s_get_pc_i64 s[6:7]
	s_add_nc_u64 s[6:7], s[6:7], __assert_fail@rel64+4
	s_mov_b64 s[8:9], s[50:51]
	s_swap_pc_i64 s[30:31], s[6:7]
	s_or_b32 s17, s17, exec_lo
	s_or_b32 exec_lo, exec_lo, s26
	s_and_saveexec_b32 s0, s24
	s_delay_alu instid0(SALU_CYCLE_1)
	s_xor_b32 s24, exec_lo, s0
	s_cbranch_execz .LBB7_360
.LBB7_782:
	s_get_pc_i64 s[0:1]
	s_add_nc_u64 s[0:1], s[0:1], .str.30@rel64+4
	s_get_pc_i64 s[2:3]
	s_add_nc_u64 s[2:3], s[2:3], .str.31@rel64+4
	s_get_pc_i64 s[4:5]
	s_add_nc_u64 s[4:5], s[4:5], __PRETTY_FUNCTION__._ZN3sop9sopFactorEPjiiPKiiP7VecsMemIjLi8192EEPN8subgUtil4SubgILi256EEE@rel64+4
	v_dual_mov_b32 v0, s0 :: v_dual_mov_b32 v1, s1
	v_dual_mov_b32 v2, s2 :: v_dual_mov_b32 v3, s3
	v_dual_mov_b32 v4, 0x1f5 :: v_dual_mov_b32 v5, s4
	s_wait_loadcnt 0x0
	v_mov_b32_e32 v6, s5
	s_get_pc_i64 s[6:7]
	s_add_nc_u64 s[6:7], s[6:7], __assert_fail@rel64+4
	s_mov_b64 s[8:9], s[50:51]
	s_swap_pc_i64 s[30:31], s[6:7]
	s_or_b32 s17, s17, exec_lo
	s_or_b32 exec_lo, exec_lo, s24
	s_and_saveexec_b32 s24, s23
	s_cbranch_execz .LBB7_361
.LBB7_783:
	s_get_pc_i64 s[0:1]
	s_add_nc_u64 s[0:1], s[0:1], .str.18@rel64+4
	s_get_pc_i64 s[2:3]
	s_add_nc_u64 s[2:3], s[2:3], .str.19@rel64+4
	s_get_pc_i64 s[4:5]
	s_add_nc_u64 s[4:5], s[4:5], __PRETTY_FUNCTION__._ZN7VecsMemIjLi8192EE6shrinkEi@rel64+4
	v_dual_mov_b32 v0, s0 :: v_dual_mov_b32 v1, s1
	v_dual_mov_b32 v2, s2 :: v_dual_mov_b32 v3, s3
	;; [unrolled: 1-line block ×3, first 2 shown]
	s_wait_loadcnt 0x0
	v_mov_b32_e32 v6, s5
	s_get_pc_i64 s[6:7]
	s_add_nc_u64 s[6:7], s[6:7], __assert_fail@rel64+4
	s_mov_b64 s[8:9], s[50:51]
	s_swap_pc_i64 s[30:31], s[6:7]
	s_or_b32 s17, s17, exec_lo
	s_or_b32 exec_lo, exec_lo, s24
	s_and_saveexec_b32 s0, s22
	s_delay_alu instid0(SALU_CYCLE_1)
	s_xor_b32 s22, exec_lo, s0
	s_cbranch_execz .LBB7_362
.LBB7_784:
	s_get_pc_i64 s[0:1]
	s_add_nc_u64 s[0:1], s[0:1], .str.18@rel64+4
	s_get_pc_i64 s[2:3]
	s_add_nc_u64 s[2:3], s[2:3], .str.19@rel64+4
	s_get_pc_i64 s[4:5]
	s_add_nc_u64 s[4:5], s[4:5], __PRETTY_FUNCTION__._ZN7VecsMemIjLi8192EE6shrinkEi@rel64+4
	v_dual_mov_b32 v0, s0 :: v_dual_mov_b32 v1, s1
	v_dual_mov_b32 v2, s2 :: v_dual_mov_b32 v3, s3
	;; [unrolled: 1-line block ×3, first 2 shown]
	s_wait_loadcnt 0x0
	v_mov_b32_e32 v6, s5
	s_get_pc_i64 s[6:7]
	s_add_nc_u64 s[6:7], s[6:7], __assert_fail@rel64+4
	s_mov_b64 s[8:9], s[50:51]
	s_swap_pc_i64 s[30:31], s[6:7]
	s_or_b32 s17, s17, exec_lo
	s_or_b32 exec_lo, exec_lo, s22
	s_and_saveexec_b32 s0, s21
	s_delay_alu instid0(SALU_CYCLE_1)
	s_xor_b32 s21, exec_lo, s0
	s_cbranch_execz .LBB7_363
.LBB7_785:
	s_get_pc_i64 s[0:1]
	s_add_nc_u64 s[0:1], s[0:1], .str.17@rel64+4
	s_get_pc_i64 s[2:3]
	s_add_nc_u64 s[2:3], s[2:3], .str.16@rel64+4
	s_get_pc_i64 s[4:5]
	s_add_nc_u64 s[4:5], s[4:5], __PRETTY_FUNCTION__._ZN3sop10minatoIsopEPKjiP7VecsMemIjLi8192EE@rel64+4
	v_dual_mov_b32 v0, s0 :: v_dual_mov_b32 v1, s1
	v_dual_mov_b32 v2, s2 :: v_dual_mov_b32 v3, s3
	;; [unrolled: 1-line block ×3, first 2 shown]
	s_wait_loadcnt 0x0
	v_mov_b32_e32 v6, s5
	s_get_pc_i64 s[6:7]
	s_add_nc_u64 s[6:7], s[6:7], __assert_fail@rel64+4
	s_mov_b64 s[8:9], s[50:51]
	s_swap_pc_i64 s[30:31], s[6:7]
	s_or_b32 s17, s17, exec_lo
	s_or_b32 exec_lo, exec_lo, s21
	s_and_saveexec_b32 s21, s20
	s_cbranch_execz .LBB7_364
.LBB7_786:
	s_load_b64 s[2:3], s[50:51], 0x50
	v_mbcnt_lo_u32_b32 v32, -1, 0
	v_mov_b64_e32 v[2:3], 0
	s_delay_alu instid0(VALU_DEP_2) | instskip(NEXT) | instid1(VALU_DEP_1)
	v_readfirstlane_b32 s0, v32
	v_cmp_eq_u32_e64 s0, s0, v32
	s_and_saveexec_b32 s1, s0
	s_cbranch_execz .LBB7_792
; %bb.787:
	v_mov_b32_e32 v0, 0
	s_mov_b32 s4, exec_lo
	s_wait_kmcnt 0x0
	global_load_b64 v[4:5], v0, s[2:3] offset:24 scope:SCOPE_SYS
	s_wait_loadcnt 0x0
	global_inv scope:SCOPE_SYS
	s_clause 0x1
	global_load_b64 v[2:3], v0, s[2:3] offset:40
	global_load_b64 v[6:7], v0, s[2:3]
	s_wait_loadcnt 0x1
	v_and_b32_e32 v2, v2, v4
	v_and_b32_e32 v3, v3, v5
	s_delay_alu instid0(VALU_DEP_1) | instskip(SKIP_1) | instid1(VALU_DEP_1)
	v_mul_u64_e32 v[2:3], 24, v[2:3]
	s_wait_loadcnt 0x0
	v_add_nc_u64_e32 v[2:3], v[6:7], v[2:3]
	global_load_b64 v[2:3], v[2:3], off scope:SCOPE_SYS
	s_wait_xcnt 0x0
	s_wait_loadcnt 0x0
	global_atomic_cmpswap_b64 v[2:3], v0, v[2:5], s[2:3] offset:24 th:TH_ATOMIC_RETURN scope:SCOPE_SYS
	s_wait_loadcnt 0x0
	global_inv scope:SCOPE_SYS
	s_wait_xcnt 0x0
	v_cmpx_ne_u64_e64 v[2:3], v[4:5]
	s_cbranch_execz .LBB7_791
; %bb.788:
	s_mov_b32 s5, 0
.LBB7_789:                              ; =>This Inner Loop Header: Depth=1
	s_sleep 1
	s_clause 0x1
	global_load_b64 v[6:7], v0, s[2:3] offset:40
	global_load_b64 v[8:9], v0, s[2:3]
	v_mov_b64_e32 v[4:5], v[2:3]
	s_wait_loadcnt 0x1
	s_delay_alu instid0(VALU_DEP_1) | instskip(SKIP_1) | instid1(VALU_DEP_1)
	v_and_b32_e32 v1, v6, v4
	s_wait_loadcnt 0x0
	v_mad_nc_u64_u32 v[2:3], v1, 24, v[8:9]
	s_delay_alu instid0(VALU_DEP_3) | instskip(NEXT) | instid1(VALU_DEP_1)
	v_and_b32_e32 v1, v7, v5
	v_mad_u32 v3, v1, 24, v3
	global_load_b64 v[2:3], v[2:3], off scope:SCOPE_SYS
	s_wait_xcnt 0x0
	s_wait_loadcnt 0x0
	global_atomic_cmpswap_b64 v[2:3], v0, v[2:5], s[2:3] offset:24 th:TH_ATOMIC_RETURN scope:SCOPE_SYS
	s_wait_loadcnt 0x0
	global_inv scope:SCOPE_SYS
	v_cmp_eq_u64_e32 vcc_lo, v[2:3], v[4:5]
	s_or_b32 s5, vcc_lo, s5
	s_wait_xcnt 0x0
	s_and_not1_b32 exec_lo, exec_lo, s5
	s_cbranch_execnz .LBB7_789
; %bb.790:
	s_or_b32 exec_lo, exec_lo, s5
.LBB7_791:
	s_delay_alu instid0(SALU_CYCLE_1)
	s_or_b32 exec_lo, exec_lo, s4
.LBB7_792:
	s_delay_alu instid0(SALU_CYCLE_1)
	s_or_b32 exec_lo, exec_lo, s1
	v_readfirstlane_b32 s4, v2
	v_mov_b32_e32 v1, 0
	v_readfirstlane_b32 s5, v3
	s_mov_b32 s1, exec_lo
	s_wait_kmcnt 0x0
	global_load_b64 v[8:9], v1, s[2:3] offset:40
	s_wait_loadcnt 0x1
	global_load_b128 v[4:7], v1, s[2:3]
	s_wait_loadcnt 0x1
	v_and_b32_e32 v10, s4, v8
	v_and_b32_e32 v11, s5, v9
	s_delay_alu instid0(VALU_DEP_1) | instskip(SKIP_1) | instid1(VALU_DEP_1)
	v_mul_u64_e32 v[2:3], 24, v[10:11]
	s_wait_loadcnt 0x0
	v_add_nc_u64_e32 v[8:9], v[4:5], v[2:3]
	s_wait_xcnt 0x0
	s_and_saveexec_b32 s6, s0
	s_cbranch_execz .LBB7_794
; %bb.793:
	v_mov_b64_e32 v[2:3], 0x100000002
	v_mov_b32_e32 v0, s1
	global_store_b128 v[8:9], v[0:3], off offset:8
.LBB7_794:
	s_wait_xcnt 0x0
	s_or_b32 exec_lo, exec_lo, s6
	v_lshlrev_b64_e32 v[2:3], 12, v[10:11]
	s_mov_b32 s8, 0
	v_dual_lshlrev_b32 v0, 6, v32 :: v_dual_mov_b32 v10, 33
	s_mov_b32 s10, s8
	s_mov_b32 s11, s8
	;; [unrolled: 1-line block ×3, first 2 shown]
	s_delay_alu instid0(VALU_DEP_2)
	v_add_nc_u64_e32 v[6:7], v[6:7], v[2:3]
	v_mov_b64_e32 v[16:17], s[10:11]
	v_mov_b64_e32 v[14:15], s[8:9]
	v_dual_mov_b32 v11, v1 :: v_dual_mov_b32 v12, v1
	v_mov_b32_e32 v13, v1
	v_readfirstlane_b32 s6, v6
	v_readfirstlane_b32 s7, v7
	s_clause 0x3
	global_store_b128 v0, v[10:13], s[6:7]
	global_store_b128 v0, v[14:17], s[6:7] offset:16
	global_store_b128 v0, v[14:17], s[6:7] offset:32
	;; [unrolled: 1-line block ×3, first 2 shown]
	s_wait_xcnt 0x0
	s_and_saveexec_b32 s1, s0
	s_cbranch_execz .LBB7_802
; %bb.795:
	v_dual_mov_b32 v12, 0 :: v_dual_mov_b32 v15, s5
	s_mov_b32 s6, exec_lo
	s_clause 0x1
	global_load_b64 v[16:17], v12, s[2:3] offset:32 scope:SCOPE_SYS
	global_load_b64 v[2:3], v12, s[2:3] offset:40
	s_wait_loadcnt 0x0
	v_dual_mov_b32 v14, s4 :: v_dual_bitop2_b32 v3, s5, v3 bitop3:0x40
	v_and_b32_e32 v2, s4, v2
	s_delay_alu instid0(VALU_DEP_1) | instskip(NEXT) | instid1(VALU_DEP_1)
	v_mul_u64_e32 v[2:3], 24, v[2:3]
	v_add_nc_u64_e32 v[10:11], v[4:5], v[2:3]
	global_store_b64 v[10:11], v[16:17], off
	global_wb scope:SCOPE_SYS
	s_wait_storecnt 0x0
	s_wait_xcnt 0x0
	global_atomic_cmpswap_b64 v[4:5], v12, v[14:17], s[2:3] offset:32 th:TH_ATOMIC_RETURN scope:SCOPE_SYS
	s_wait_loadcnt 0x0
	v_cmpx_ne_u64_e64 v[4:5], v[16:17]
	s_cbranch_execz .LBB7_798
; %bb.796:
	s_mov_b32 s7, 0
.LBB7_797:                              ; =>This Inner Loop Header: Depth=1
	v_dual_mov_b32 v2, s4 :: v_dual_mov_b32 v3, s5
	s_sleep 1
	global_store_b64 v[10:11], v[4:5], off
	global_wb scope:SCOPE_SYS
	s_wait_storecnt 0x0
	s_wait_xcnt 0x0
	global_atomic_cmpswap_b64 v[2:3], v12, v[2:5], s[2:3] offset:32 th:TH_ATOMIC_RETURN scope:SCOPE_SYS
	s_wait_loadcnt 0x0
	v_cmp_eq_u64_e32 vcc_lo, v[2:3], v[4:5]
	v_mov_b64_e32 v[4:5], v[2:3]
	s_or_b32 s7, vcc_lo, s7
	s_delay_alu instid0(SALU_CYCLE_1)
	s_and_not1_b32 exec_lo, exec_lo, s7
	s_cbranch_execnz .LBB7_797
.LBB7_798:
	s_or_b32 exec_lo, exec_lo, s6
	v_mov_b32_e32 v5, 0
	s_mov_b32 s7, exec_lo
	s_mov_b32 s6, exec_lo
	v_mbcnt_lo_u32_b32 v4, s7, 0
	global_load_b64 v[2:3], v5, s[2:3] offset:16
	s_wait_xcnt 0x0
	v_cmpx_eq_u32_e32 0, v4
	s_cbranch_execz .LBB7_800
; %bb.799:
	s_bcnt1_i32_b32 s7, s7
	s_delay_alu instid0(SALU_CYCLE_1)
	v_mov_b32_e32 v4, s7
	global_wb scope:SCOPE_SYS
	s_wait_loadcnt 0x0
	s_wait_storecnt 0x0
	global_atomic_add_u64 v[2:3], v[4:5], off offset:8 scope:SCOPE_SYS
.LBB7_800:
	s_wait_xcnt 0x0
	s_or_b32 exec_lo, exec_lo, s6
	s_wait_loadcnt 0x0
	global_load_b64 v[4:5], v[2:3], off offset:16
	s_wait_loadcnt 0x0
	v_cmp_eq_u64_e32 vcc_lo, 0, v[4:5]
	s_cbranch_vccnz .LBB7_802
; %bb.801:
	global_load_b32 v2, v[2:3], off offset:24
	s_wait_xcnt 0x0
	v_mov_b32_e32 v3, 0
	s_wait_loadcnt 0x0
	v_readfirstlane_b32 s6, v2
	global_wb scope:SCOPE_SYS
	s_wait_storecnt 0x0
	global_store_b64 v[4:5], v[2:3], off scope:SCOPE_SYS
	s_and_b32 m0, s6, 0xffffff
	s_sendmsg sendmsg(MSG_INTERRUPT)
.LBB7_802:
	s_wait_xcnt 0x0
	s_or_b32 exec_lo, exec_lo, s1
	v_add_nc_u64_e32 v[2:3], v[6:7], v[0:1]
	s_branch .LBB7_806
.LBB7_803:                              ;   in Loop: Header=BB7_806 Depth=1
	s_wait_xcnt 0x0
	s_or_b32 exec_lo, exec_lo, s1
	s_delay_alu instid0(VALU_DEP_1)
	v_readfirstlane_b32 s1, v1
	s_cmp_eq_u32 s1, 0
	s_cbranch_scc1 .LBB7_805
; %bb.804:                              ;   in Loop: Header=BB7_806 Depth=1
	s_sleep 1
	s_cbranch_execnz .LBB7_806
	s_branch .LBB7_808
.LBB7_805:
	s_branch .LBB7_808
.LBB7_806:                              ; =>This Inner Loop Header: Depth=1
	v_mov_b32_e32 v1, 1
	s_and_saveexec_b32 s1, s0
	s_cbranch_execz .LBB7_803
; %bb.807:                              ;   in Loop: Header=BB7_806 Depth=1
	global_load_b32 v1, v[8:9], off offset:20 scope:SCOPE_SYS
	s_wait_loadcnt 0x0
	global_inv scope:SCOPE_SYS
	v_and_b32_e32 v1, 1, v1
	s_branch .LBB7_803
.LBB7_808:
	global_load_b64 v[2:3], v[2:3], off
	s_wait_xcnt 0x0
	s_and_saveexec_b32 s6, s0
	s_cbranch_execz .LBB7_812
; %bb.809:
	v_mov_b32_e32 v1, 0
	s_clause 0x2
	global_load_b64 v[4:5], v1, s[2:3] offset:40
	global_load_b64 v[12:13], v1, s[2:3] offset:24 scope:SCOPE_SYS
	global_load_b64 v[6:7], v1, s[2:3]
	s_wait_loadcnt 0x2
	v_readfirstlane_b32 s8, v4
	v_readfirstlane_b32 s9, v5
	s_add_nc_u64 s[0:1], s[8:9], 1
	s_delay_alu instid0(SALU_CYCLE_1) | instskip(NEXT) | instid1(SALU_CYCLE_1)
	s_add_nc_u64 s[4:5], s[0:1], s[4:5]
	s_cmp_eq_u64 s[4:5], 0
	s_cselect_b32 s1, s1, s5
	s_cselect_b32 s0, s0, s4
	v_mov_b32_e32 v11, s1
	s_and_b64 s[4:5], s[0:1], s[8:9]
	v_mov_b32_e32 v10, s0
	s_mul_u64 s[4:5], s[4:5], 24
	s_wait_loadcnt 0x0
	v_add_nc_u64_e32 v[8:9], s[4:5], v[6:7]
	global_store_b64 v[8:9], v[12:13], off
	global_wb scope:SCOPE_SYS
	s_wait_storecnt 0x0
	s_wait_xcnt 0x0
	global_atomic_cmpswap_b64 v[6:7], v1, v[10:13], s[2:3] offset:24 th:TH_ATOMIC_RETURN scope:SCOPE_SYS
	s_wait_loadcnt 0x0
	v_cmp_ne_u64_e32 vcc_lo, v[6:7], v[12:13]
	s_and_b32 exec_lo, exec_lo, vcc_lo
	s_cbranch_execz .LBB7_812
; %bb.810:
	s_mov_b32 s4, 0
.LBB7_811:                              ; =>This Inner Loop Header: Depth=1
	v_dual_mov_b32 v4, s0 :: v_dual_mov_b32 v5, s1
	s_sleep 1
	global_store_b64 v[8:9], v[6:7], off
	global_wb scope:SCOPE_SYS
	s_wait_storecnt 0x0
	s_wait_xcnt 0x0
	global_atomic_cmpswap_b64 v[4:5], v1, v[4:7], s[2:3] offset:24 th:TH_ATOMIC_RETURN scope:SCOPE_SYS
	s_wait_loadcnt 0x0
	v_cmp_eq_u64_e32 vcc_lo, v[4:5], v[6:7]
	v_mov_b64_e32 v[6:7], v[4:5]
	s_or_b32 s4, vcc_lo, s4
	s_delay_alu instid0(SALU_CYCLE_1)
	s_and_not1_b32 exec_lo, exec_lo, s4
	s_cbranch_execnz .LBB7_811
.LBB7_812:
	s_or_b32 exec_lo, exec_lo, s6
	s_get_pc_i64 s[4:5]
	s_add_nc_u64 s[4:5], s[4:5], .str.28@rel64+4
	s_delay_alu instid0(SALU_CYCLE_1)
	s_cmp_lg_u64 s[4:5], 0
	s_cbranch_scc0 .LBB7_891
; %bb.813:
	v_mov_b64_e32 v[6:7], 0x100000002
	s_wait_loadcnt 0x0
	v_dual_mov_b32 v9, v3 :: v_dual_bitop2_b32 v8, -3, v2 bitop3:0x40
	v_mov_b32_e32 v5, 0
	s_mov_b64 s[6:7], 35
	s_branch .LBB7_815
.LBB7_814:                              ;   in Loop: Header=BB7_815 Depth=1
	s_or_b32 exec_lo, exec_lo, s12
	s_sub_nc_u64 s[6:7], s[6:7], s[8:9]
	s_add_nc_u64 s[4:5], s[4:5], s[8:9]
	s_cmp_lg_u64 s[6:7], 0
	s_cbranch_scc0 .LBB7_890
.LBB7_815:                              ; =>This Loop Header: Depth=1
                                        ;     Child Loop BB7_818 Depth 2
                                        ;     Child Loop BB7_825 Depth 2
	;; [unrolled: 1-line block ×11, first 2 shown]
	s_wait_loadcnt 0x0
	v_min_u64 v[10:11], s[6:7], 56
	v_cmp_gt_u64_e64 s0, s[6:7], 7
	s_and_b32 vcc_lo, exec_lo, s0
	v_readfirstlane_b32 s8, v10
	v_readfirstlane_b32 s9, v11
	s_cbranch_vccnz .LBB7_820
; %bb.816:                              ;   in Loop: Header=BB7_815 Depth=1
	v_mov_b64_e32 v[10:11], 0
	s_cmp_eq_u64 s[6:7], 0
	s_cbranch_scc1 .LBB7_819
; %bb.817:                              ;   in Loop: Header=BB7_815 Depth=1
	s_mov_b64 s[0:1], 0
	s_mov_b64 s[10:11], 0
.LBB7_818:                              ;   Parent Loop BB7_815 Depth=1
                                        ; =>  This Inner Loop Header: Depth=2
	s_wait_xcnt 0x0
	s_add_nc_u64 s[12:13], s[4:5], s[10:11]
	s_add_nc_u64 s[10:11], s[10:11], 1
	global_load_u8 v1, v5, s[12:13]
	s_cmp_lg_u32 s8, s10
	s_wait_loadcnt 0x0
	v_and_b32_e32 v4, 0xffff, v1
	s_delay_alu instid0(VALU_DEP_1) | instskip(SKIP_1) | instid1(VALU_DEP_1)
	v_lshlrev_b64_e32 v[12:13], s0, v[4:5]
	s_add_nc_u64 s[0:1], s[0:1], 8
	v_or_b32_e32 v10, v12, v10
	s_delay_alu instid0(VALU_DEP_2)
	v_or_b32_e32 v11, v13, v11
	s_cbranch_scc1 .LBB7_818
.LBB7_819:                              ;   in Loop: Header=BB7_815 Depth=1
	s_mov_b64 s[10:11], s[4:5]
	s_mov_b32 s14, 0
	s_cbranch_execz .LBB7_821
	s_branch .LBB7_822
.LBB7_820:                              ;   in Loop: Header=BB7_815 Depth=1
	s_add_nc_u64 s[10:11], s[4:5], 8
	s_mov_b32 s14, 0
.LBB7_821:                              ;   in Loop: Header=BB7_815 Depth=1
	global_load_b64 v[10:11], v5, s[4:5]
	s_add_co_i32 s14, s8, -8
.LBB7_822:                              ;   in Loop: Header=BB7_815 Depth=1
	s_delay_alu instid0(SALU_CYCLE_1)
	s_cmp_gt_u32 s14, 7
	s_cbranch_scc1 .LBB7_827
; %bb.823:                              ;   in Loop: Header=BB7_815 Depth=1
	v_mov_b64_e32 v[12:13], 0
	s_cmp_eq_u32 s14, 0
	s_cbranch_scc1 .LBB7_826
; %bb.824:                              ;   in Loop: Header=BB7_815 Depth=1
	s_mov_b64 s[0:1], 0
	s_wait_xcnt 0x0
	s_mov_b64 s[12:13], 0
.LBB7_825:                              ;   Parent Loop BB7_815 Depth=1
                                        ; =>  This Inner Loop Header: Depth=2
	s_wait_xcnt 0x0
	s_add_nc_u64 s[22:23], s[10:11], s[12:13]
	s_add_nc_u64 s[12:13], s[12:13], 1
	global_load_u8 v1, v5, s[22:23]
	s_cmp_lg_u32 s14, s12
	s_wait_loadcnt 0x0
	v_and_b32_e32 v4, 0xffff, v1
	s_delay_alu instid0(VALU_DEP_1) | instskip(SKIP_1) | instid1(VALU_DEP_1)
	v_lshlrev_b64_e32 v[14:15], s0, v[4:5]
	s_add_nc_u64 s[0:1], s[0:1], 8
	v_or_b32_e32 v12, v14, v12
	s_delay_alu instid0(VALU_DEP_2)
	v_or_b32_e32 v13, v15, v13
	s_cbranch_scc1 .LBB7_825
.LBB7_826:                              ;   in Loop: Header=BB7_815 Depth=1
	s_wait_xcnt 0x0
	s_mov_b64 s[0:1], s[10:11]
	s_mov_b32 s15, 0
	s_cbranch_execz .LBB7_828
	s_branch .LBB7_829
.LBB7_827:                              ;   in Loop: Header=BB7_815 Depth=1
	s_add_nc_u64 s[0:1], s[10:11], 8
	s_wait_xcnt 0x0
                                        ; implicit-def: $vgpr12_vgpr13
	s_mov_b32 s15, 0
.LBB7_828:                              ;   in Loop: Header=BB7_815 Depth=1
	global_load_b64 v[12:13], v5, s[10:11]
	s_add_co_i32 s15, s14, -8
.LBB7_829:                              ;   in Loop: Header=BB7_815 Depth=1
	s_delay_alu instid0(SALU_CYCLE_1)
	s_cmp_gt_u32 s15, 7
	s_cbranch_scc1 .LBB7_834
; %bb.830:                              ;   in Loop: Header=BB7_815 Depth=1
	v_mov_b64_e32 v[14:15], 0
	s_cmp_eq_u32 s15, 0
	s_cbranch_scc1 .LBB7_833
; %bb.831:                              ;   in Loop: Header=BB7_815 Depth=1
	s_wait_xcnt 0x0
	s_mov_b64 s[10:11], 0
	s_mov_b64 s[12:13], 0
.LBB7_832:                              ;   Parent Loop BB7_815 Depth=1
                                        ; =>  This Inner Loop Header: Depth=2
	s_wait_xcnt 0x0
	s_add_nc_u64 s[22:23], s[0:1], s[12:13]
	s_add_nc_u64 s[12:13], s[12:13], 1
	global_load_u8 v1, v5, s[22:23]
	s_cmp_lg_u32 s15, s12
	s_wait_loadcnt 0x0
	v_and_b32_e32 v4, 0xffff, v1
	s_delay_alu instid0(VALU_DEP_1) | instskip(SKIP_1) | instid1(VALU_DEP_1)
	v_lshlrev_b64_e32 v[16:17], s10, v[4:5]
	s_add_nc_u64 s[10:11], s[10:11], 8
	v_or_b32_e32 v14, v16, v14
	s_delay_alu instid0(VALU_DEP_2)
	v_or_b32_e32 v15, v17, v15
	s_cbranch_scc1 .LBB7_832
.LBB7_833:                              ;   in Loop: Header=BB7_815 Depth=1
	s_wait_xcnt 0x0
	s_mov_b64 s[10:11], s[0:1]
	s_mov_b32 s14, 0
	s_cbranch_execz .LBB7_835
	s_branch .LBB7_836
.LBB7_834:                              ;   in Loop: Header=BB7_815 Depth=1
	s_wait_xcnt 0x0
	s_add_nc_u64 s[10:11], s[0:1], 8
	s_mov_b32 s14, 0
.LBB7_835:                              ;   in Loop: Header=BB7_815 Depth=1
	global_load_b64 v[14:15], v5, s[0:1]
	s_add_co_i32 s14, s15, -8
.LBB7_836:                              ;   in Loop: Header=BB7_815 Depth=1
	s_delay_alu instid0(SALU_CYCLE_1)
	s_cmp_gt_u32 s14, 7
	s_cbranch_scc1 .LBB7_841
; %bb.837:                              ;   in Loop: Header=BB7_815 Depth=1
	v_mov_b64_e32 v[16:17], 0
	s_cmp_eq_u32 s14, 0
	s_cbranch_scc1 .LBB7_840
; %bb.838:                              ;   in Loop: Header=BB7_815 Depth=1
	s_wait_xcnt 0x0
	s_mov_b64 s[0:1], 0
	s_mov_b64 s[12:13], 0
.LBB7_839:                              ;   Parent Loop BB7_815 Depth=1
                                        ; =>  This Inner Loop Header: Depth=2
	s_wait_xcnt 0x0
	s_add_nc_u64 s[22:23], s[10:11], s[12:13]
	s_add_nc_u64 s[12:13], s[12:13], 1
	global_load_u8 v1, v5, s[22:23]
	s_cmp_lg_u32 s14, s12
	s_wait_loadcnt 0x0
	v_and_b32_e32 v4, 0xffff, v1
	s_delay_alu instid0(VALU_DEP_1) | instskip(SKIP_1) | instid1(VALU_DEP_1)
	v_lshlrev_b64_e32 v[18:19], s0, v[4:5]
	s_add_nc_u64 s[0:1], s[0:1], 8
	v_or_b32_e32 v16, v18, v16
	s_delay_alu instid0(VALU_DEP_2)
	v_or_b32_e32 v17, v19, v17
	s_cbranch_scc1 .LBB7_839
.LBB7_840:                              ;   in Loop: Header=BB7_815 Depth=1
	s_wait_xcnt 0x0
	s_mov_b64 s[0:1], s[10:11]
	s_mov_b32 s15, 0
	s_cbranch_execz .LBB7_842
	s_branch .LBB7_843
.LBB7_841:                              ;   in Loop: Header=BB7_815 Depth=1
	s_wait_xcnt 0x0
	s_add_nc_u64 s[0:1], s[10:11], 8
                                        ; implicit-def: $vgpr16_vgpr17
	s_mov_b32 s15, 0
.LBB7_842:                              ;   in Loop: Header=BB7_815 Depth=1
	global_load_b64 v[16:17], v5, s[10:11]
	s_add_co_i32 s15, s14, -8
.LBB7_843:                              ;   in Loop: Header=BB7_815 Depth=1
	s_delay_alu instid0(SALU_CYCLE_1)
	s_cmp_gt_u32 s15, 7
	s_cbranch_scc1 .LBB7_848
; %bb.844:                              ;   in Loop: Header=BB7_815 Depth=1
	v_mov_b64_e32 v[18:19], 0
	s_cmp_eq_u32 s15, 0
	s_cbranch_scc1 .LBB7_847
; %bb.845:                              ;   in Loop: Header=BB7_815 Depth=1
	s_wait_xcnt 0x0
	s_mov_b64 s[10:11], 0
	s_mov_b64 s[12:13], 0
.LBB7_846:                              ;   Parent Loop BB7_815 Depth=1
                                        ; =>  This Inner Loop Header: Depth=2
	s_wait_xcnt 0x0
	s_add_nc_u64 s[22:23], s[0:1], s[12:13]
	s_add_nc_u64 s[12:13], s[12:13], 1
	global_load_u8 v1, v5, s[22:23]
	s_cmp_lg_u32 s15, s12
	s_wait_loadcnt 0x0
	v_and_b32_e32 v4, 0xffff, v1
	s_delay_alu instid0(VALU_DEP_1) | instskip(SKIP_1) | instid1(VALU_DEP_1)
	v_lshlrev_b64_e32 v[20:21], s10, v[4:5]
	s_add_nc_u64 s[10:11], s[10:11], 8
	v_or_b32_e32 v18, v20, v18
	s_delay_alu instid0(VALU_DEP_2)
	v_or_b32_e32 v19, v21, v19
	s_cbranch_scc1 .LBB7_846
.LBB7_847:                              ;   in Loop: Header=BB7_815 Depth=1
	s_wait_xcnt 0x0
	s_mov_b64 s[10:11], s[0:1]
	s_mov_b32 s14, 0
	s_cbranch_execz .LBB7_849
	s_branch .LBB7_850
.LBB7_848:                              ;   in Loop: Header=BB7_815 Depth=1
	s_wait_xcnt 0x0
	s_add_nc_u64 s[10:11], s[0:1], 8
	s_mov_b32 s14, 0
.LBB7_849:                              ;   in Loop: Header=BB7_815 Depth=1
	global_load_b64 v[18:19], v5, s[0:1]
	s_add_co_i32 s14, s15, -8
.LBB7_850:                              ;   in Loop: Header=BB7_815 Depth=1
	s_delay_alu instid0(SALU_CYCLE_1)
	s_cmp_gt_u32 s14, 7
	s_cbranch_scc1 .LBB7_855
; %bb.851:                              ;   in Loop: Header=BB7_815 Depth=1
	v_mov_b64_e32 v[20:21], 0
	s_cmp_eq_u32 s14, 0
	s_cbranch_scc1 .LBB7_854
; %bb.852:                              ;   in Loop: Header=BB7_815 Depth=1
	s_wait_xcnt 0x0
	s_mov_b64 s[0:1], 0
	s_mov_b64 s[12:13], 0
.LBB7_853:                              ;   Parent Loop BB7_815 Depth=1
                                        ; =>  This Inner Loop Header: Depth=2
	s_wait_xcnt 0x0
	s_add_nc_u64 s[22:23], s[10:11], s[12:13]
	s_add_nc_u64 s[12:13], s[12:13], 1
	global_load_u8 v1, v5, s[22:23]
	s_cmp_lg_u32 s14, s12
	s_wait_loadcnt 0x0
	v_and_b32_e32 v4, 0xffff, v1
	s_delay_alu instid0(VALU_DEP_1) | instskip(SKIP_1) | instid1(VALU_DEP_1)
	v_lshlrev_b64_e32 v[22:23], s0, v[4:5]
	s_add_nc_u64 s[0:1], s[0:1], 8
	v_or_b32_e32 v20, v22, v20
	s_delay_alu instid0(VALU_DEP_2)
	v_or_b32_e32 v21, v23, v21
	s_cbranch_scc1 .LBB7_853
.LBB7_854:                              ;   in Loop: Header=BB7_815 Depth=1
	s_wait_xcnt 0x0
	s_mov_b64 s[0:1], s[10:11]
	s_mov_b32 s15, 0
	s_cbranch_execz .LBB7_856
	s_branch .LBB7_857
.LBB7_855:                              ;   in Loop: Header=BB7_815 Depth=1
	s_wait_xcnt 0x0
	s_add_nc_u64 s[0:1], s[10:11], 8
                                        ; implicit-def: $vgpr20_vgpr21
	s_mov_b32 s15, 0
.LBB7_856:                              ;   in Loop: Header=BB7_815 Depth=1
	global_load_b64 v[20:21], v5, s[10:11]
	s_add_co_i32 s15, s14, -8
.LBB7_857:                              ;   in Loop: Header=BB7_815 Depth=1
	s_delay_alu instid0(SALU_CYCLE_1)
	s_cmp_gt_u32 s15, 7
	s_cbranch_scc1 .LBB7_862
; %bb.858:                              ;   in Loop: Header=BB7_815 Depth=1
	v_mov_b64_e32 v[22:23], 0
	s_cmp_eq_u32 s15, 0
	s_cbranch_scc1 .LBB7_861
; %bb.859:                              ;   in Loop: Header=BB7_815 Depth=1
	s_wait_xcnt 0x0
	s_mov_b64 s[10:11], 0
	s_mov_b64 s[12:13], s[0:1]
.LBB7_860:                              ;   Parent Loop BB7_815 Depth=1
                                        ; =>  This Inner Loop Header: Depth=2
	global_load_u8 v1, v5, s[12:13]
	s_add_co_i32 s15, s15, -1
	s_wait_xcnt 0x0
	s_add_nc_u64 s[12:13], s[12:13], 1
	s_cmp_lg_u32 s15, 0
	s_wait_loadcnt 0x0
	v_and_b32_e32 v4, 0xffff, v1
	s_delay_alu instid0(VALU_DEP_1) | instskip(SKIP_1) | instid1(VALU_DEP_1)
	v_lshlrev_b64_e32 v[24:25], s10, v[4:5]
	s_add_nc_u64 s[10:11], s[10:11], 8
	v_or_b32_e32 v22, v24, v22
	s_delay_alu instid0(VALU_DEP_2)
	v_or_b32_e32 v23, v25, v23
	s_cbranch_scc1 .LBB7_860
.LBB7_861:                              ;   in Loop: Header=BB7_815 Depth=1
	s_wait_xcnt 0x0
	s_cbranch_execz .LBB7_863
	s_branch .LBB7_864
.LBB7_862:                              ;   in Loop: Header=BB7_815 Depth=1
	s_wait_xcnt 0x0
.LBB7_863:                              ;   in Loop: Header=BB7_815 Depth=1
	global_load_b64 v[22:23], v5, s[0:1]
.LBB7_864:                              ;   in Loop: Header=BB7_815 Depth=1
	s_wait_xcnt 0x0
	v_readfirstlane_b32 s0, v32
	v_mov_b64_e32 v[28:29], 0
	s_delay_alu instid0(VALU_DEP_2)
	v_cmp_eq_u32_e64 s0, s0, v32
	s_and_saveexec_b32 s1, s0
	s_cbranch_execz .LBB7_870
; %bb.865:                              ;   in Loop: Header=BB7_815 Depth=1
	global_load_b64 v[26:27], v5, s[2:3] offset:24 scope:SCOPE_SYS
	s_wait_loadcnt 0x0
	global_inv scope:SCOPE_SYS
	s_clause 0x1
	global_load_b64 v[24:25], v5, s[2:3] offset:40
	global_load_b64 v[28:29], v5, s[2:3]
	s_mov_b32 s10, exec_lo
	s_wait_loadcnt 0x1
	v_and_b32_e32 v24, v24, v26
	v_and_b32_e32 v25, v25, v27
	s_delay_alu instid0(VALU_DEP_1) | instskip(SKIP_1) | instid1(VALU_DEP_1)
	v_mul_u64_e32 v[24:25], 24, v[24:25]
	s_wait_loadcnt 0x0
	v_add_nc_u64_e32 v[24:25], v[28:29], v[24:25]
	global_load_b64 v[24:25], v[24:25], off scope:SCOPE_SYS
	s_wait_xcnt 0x0
	s_wait_loadcnt 0x0
	global_atomic_cmpswap_b64 v[28:29], v5, v[24:27], s[2:3] offset:24 th:TH_ATOMIC_RETURN scope:SCOPE_SYS
	s_wait_loadcnt 0x0
	global_inv scope:SCOPE_SYS
	s_wait_xcnt 0x0
	v_cmpx_ne_u64_e64 v[28:29], v[26:27]
	s_cbranch_execz .LBB7_869
; %bb.866:                              ;   in Loop: Header=BB7_815 Depth=1
	s_mov_b32 s11, 0
.LBB7_867:                              ;   Parent Loop BB7_815 Depth=1
                                        ; =>  This Inner Loop Header: Depth=2
	s_sleep 1
	s_clause 0x1
	global_load_b64 v[24:25], v5, s[2:3] offset:40
	global_load_b64 v[30:31], v5, s[2:3]
	v_mov_b64_e32 v[26:27], v[28:29]
	s_wait_loadcnt 0x1
	s_delay_alu instid0(VALU_DEP_1) | instskip(SKIP_1) | instid1(VALU_DEP_1)
	v_and_b32_e32 v1, v24, v26
	s_wait_loadcnt 0x0
	v_mad_nc_u64_u32 v[28:29], v1, 24, v[30:31]
	s_delay_alu instid0(VALU_DEP_3) | instskip(NEXT) | instid1(VALU_DEP_1)
	v_and_b32_e32 v1, v25, v27
	v_mad_u32 v29, v1, 24, v29
	global_load_b64 v[24:25], v[28:29], off scope:SCOPE_SYS
	s_wait_xcnt 0x0
	s_wait_loadcnt 0x0
	global_atomic_cmpswap_b64 v[28:29], v5, v[24:27], s[2:3] offset:24 th:TH_ATOMIC_RETURN scope:SCOPE_SYS
	s_wait_loadcnt 0x0
	global_inv scope:SCOPE_SYS
	v_cmp_eq_u64_e32 vcc_lo, v[28:29], v[26:27]
	s_or_b32 s11, vcc_lo, s11
	s_wait_xcnt 0x0
	s_and_not1_b32 exec_lo, exec_lo, s11
	s_cbranch_execnz .LBB7_867
; %bb.868:                              ;   in Loop: Header=BB7_815 Depth=1
	s_or_b32 exec_lo, exec_lo, s11
.LBB7_869:                              ;   in Loop: Header=BB7_815 Depth=1
	s_delay_alu instid0(SALU_CYCLE_1)
	s_or_b32 exec_lo, exec_lo, s10
.LBB7_870:                              ;   in Loop: Header=BB7_815 Depth=1
	s_delay_alu instid0(SALU_CYCLE_1)
	s_or_b32 exec_lo, exec_lo, s1
	s_clause 0x1
	global_load_b64 v[30:31], v5, s[2:3] offset:40
	global_load_b128 v[24:27], v5, s[2:3]
	v_readfirstlane_b32 s10, v28
	v_readfirstlane_b32 s11, v29
	s_mov_b32 s1, exec_lo
	s_wait_loadcnt 0x1
	v_and_b32_e32 v30, s10, v30
	v_and_b32_e32 v31, s11, v31
	s_delay_alu instid0(VALU_DEP_1) | instskip(SKIP_1) | instid1(VALU_DEP_1)
	v_mul_u64_e32 v[28:29], 24, v[30:31]
	s_wait_loadcnt 0x0
	v_add_nc_u64_e32 v[28:29], v[24:25], v[28:29]
	s_wait_xcnt 0x0
	s_and_saveexec_b32 s12, s0
	s_cbranch_execz .LBB7_872
; %bb.871:                              ;   in Loop: Header=BB7_815 Depth=1
	v_mov_b32_e32 v4, s1
	global_store_b128 v[28:29], v[4:7], off offset:8
.LBB7_872:                              ;   in Loop: Header=BB7_815 Depth=1
	s_wait_xcnt 0x0
	s_or_b32 exec_lo, exec_lo, s12
	v_cmp_gt_u64_e64 s1, s[6:7], 56
	v_lshlrev_b64_e32 v[30:31], 12, v[30:31]
	v_and_b32_e32 v1, 0xffffff1f, v8
	s_and_b32 s1, s1, exec_lo
	s_delay_alu instid0(VALU_DEP_2) | instskip(SKIP_4) | instid1(VALU_DEP_2)
	v_add_nc_u64_e32 v[26:27], v[26:27], v[30:31]
	s_cselect_b32 s1, 0, 2
	s_lshl_b32 s12, s8, 2
	v_or_b32_e32 v1, s1, v1
	s_add_co_i32 s1, s12, 28
	v_readfirstlane_b32 s12, v26
	s_delay_alu instid0(VALU_DEP_3) | instskip(NEXT) | instid1(VALU_DEP_3)
	v_readfirstlane_b32 s13, v27
	v_and_or_b32 v8, 0x1e0, s1, v1
	s_clause 0x3
	global_store_b128 v0, v[8:11], s[12:13]
	global_store_b128 v0, v[12:15], s[12:13] offset:16
	global_store_b128 v0, v[16:19], s[12:13] offset:32
	;; [unrolled: 1-line block ×3, first 2 shown]
	s_wait_xcnt 0x0
	s_and_saveexec_b32 s1, s0
	s_cbranch_execz .LBB7_880
; %bb.873:                              ;   in Loop: Header=BB7_815 Depth=1
	s_clause 0x1
	global_load_b64 v[16:17], v5, s[2:3] offset:32 scope:SCOPE_SYS
	global_load_b64 v[8:9], v5, s[2:3] offset:40
	s_mov_b32 s12, exec_lo
	v_dual_mov_b32 v14, s10 :: v_dual_mov_b32 v15, s11
	s_wait_loadcnt 0x0
	v_and_b32_e32 v9, s11, v9
	v_and_b32_e32 v8, s10, v8
	s_delay_alu instid0(VALU_DEP_1) | instskip(NEXT) | instid1(VALU_DEP_1)
	v_mul_u64_e32 v[8:9], 24, v[8:9]
	v_add_nc_u64_e32 v[12:13], v[24:25], v[8:9]
	global_store_b64 v[12:13], v[16:17], off
	global_wb scope:SCOPE_SYS
	s_wait_storecnt 0x0
	s_wait_xcnt 0x0
	global_atomic_cmpswap_b64 v[10:11], v5, v[14:17], s[2:3] offset:32 th:TH_ATOMIC_RETURN scope:SCOPE_SYS
	s_wait_loadcnt 0x0
	v_cmpx_ne_u64_e64 v[10:11], v[16:17]
	s_cbranch_execz .LBB7_876
; %bb.874:                              ;   in Loop: Header=BB7_815 Depth=1
	s_mov_b32 s13, 0
.LBB7_875:                              ;   Parent Loop BB7_815 Depth=1
                                        ; =>  This Inner Loop Header: Depth=2
	v_dual_mov_b32 v8, s10 :: v_dual_mov_b32 v9, s11
	s_sleep 1
	global_store_b64 v[12:13], v[10:11], off
	global_wb scope:SCOPE_SYS
	s_wait_storecnt 0x0
	s_wait_xcnt 0x0
	global_atomic_cmpswap_b64 v[8:9], v5, v[8:11], s[2:3] offset:32 th:TH_ATOMIC_RETURN scope:SCOPE_SYS
	s_wait_loadcnt 0x0
	v_cmp_eq_u64_e32 vcc_lo, v[8:9], v[10:11]
	v_mov_b64_e32 v[10:11], v[8:9]
	s_or_b32 s13, vcc_lo, s13
	s_delay_alu instid0(SALU_CYCLE_1)
	s_and_not1_b32 exec_lo, exec_lo, s13
	s_cbranch_execnz .LBB7_875
.LBB7_876:                              ;   in Loop: Header=BB7_815 Depth=1
	s_or_b32 exec_lo, exec_lo, s12
	global_load_b64 v[8:9], v5, s[2:3] offset:16
	s_mov_b32 s13, exec_lo
	s_mov_b32 s12, exec_lo
	v_mbcnt_lo_u32_b32 v1, s13, 0
	s_wait_xcnt 0x0
	s_delay_alu instid0(VALU_DEP_1)
	v_cmpx_eq_u32_e32 0, v1
	s_cbranch_execz .LBB7_878
; %bb.877:                              ;   in Loop: Header=BB7_815 Depth=1
	s_bcnt1_i32_b32 s13, s13
	s_delay_alu instid0(SALU_CYCLE_1)
	v_mov_b32_e32 v4, s13
	global_wb scope:SCOPE_SYS
	s_wait_loadcnt 0x0
	s_wait_storecnt 0x0
	global_atomic_add_u64 v[8:9], v[4:5], off offset:8 scope:SCOPE_SYS
.LBB7_878:                              ;   in Loop: Header=BB7_815 Depth=1
	s_wait_xcnt 0x0
	s_or_b32 exec_lo, exec_lo, s12
	s_wait_loadcnt 0x0
	global_load_b64 v[10:11], v[8:9], off offset:16
	s_wait_loadcnt 0x0
	v_cmp_eq_u64_e32 vcc_lo, 0, v[10:11]
	s_cbranch_vccnz .LBB7_880
; %bb.879:                              ;   in Loop: Header=BB7_815 Depth=1
	global_load_b32 v4, v[8:9], off offset:24
	s_wait_loadcnt 0x0
	v_readfirstlane_b32 s12, v4
	global_wb scope:SCOPE_SYS
	s_wait_storecnt 0x0
	s_wait_xcnt 0x0
	global_store_b64 v[10:11], v[4:5], off scope:SCOPE_SYS
	s_and_b32 m0, s12, 0xffffff
	s_sendmsg sendmsg(MSG_INTERRUPT)
.LBB7_880:                              ;   in Loop: Header=BB7_815 Depth=1
	s_wait_xcnt 0x0
	s_or_b32 exec_lo, exec_lo, s1
	v_mov_b32_e32 v1, v5
	s_delay_alu instid0(VALU_DEP_1)
	v_add_nc_u64_e32 v[8:9], v[26:27], v[0:1]
	s_branch .LBB7_884
.LBB7_881:                              ;   in Loop: Header=BB7_884 Depth=2
	s_wait_xcnt 0x0
	s_or_b32 exec_lo, exec_lo, s1
	s_delay_alu instid0(VALU_DEP_1)
	v_readfirstlane_b32 s1, v1
	s_cmp_eq_u32 s1, 0
	s_cbranch_scc1 .LBB7_883
; %bb.882:                              ;   in Loop: Header=BB7_884 Depth=2
	s_sleep 1
	s_cbranch_execnz .LBB7_884
	s_branch .LBB7_886
.LBB7_883:                              ;   in Loop: Header=BB7_815 Depth=1
	s_branch .LBB7_886
.LBB7_884:                              ;   Parent Loop BB7_815 Depth=1
                                        ; =>  This Inner Loop Header: Depth=2
	v_mov_b32_e32 v1, 1
	s_and_saveexec_b32 s1, s0
	s_cbranch_execz .LBB7_881
; %bb.885:                              ;   in Loop: Header=BB7_884 Depth=2
	global_load_b32 v1, v[28:29], off offset:20 scope:SCOPE_SYS
	s_wait_loadcnt 0x0
	global_inv scope:SCOPE_SYS
	v_and_b32_e32 v1, 1, v1
	s_branch .LBB7_881
.LBB7_886:                              ;   in Loop: Header=BB7_815 Depth=1
	global_load_b128 v[8:11], v[8:9], off
	s_wait_xcnt 0x0
	s_and_saveexec_b32 s12, s0
	s_cbranch_execz .LBB7_814
; %bb.887:                              ;   in Loop: Header=BB7_815 Depth=1
	s_wait_loadcnt 0x0
	s_clause 0x2
	global_load_b64 v[10:11], v5, s[2:3] offset:40
	global_load_b64 v[18:19], v5, s[2:3] offset:24 scope:SCOPE_SYS
	global_load_b64 v[12:13], v5, s[2:3]
	s_wait_loadcnt 0x2
	v_readfirstlane_b32 s14, v10
	v_readfirstlane_b32 s15, v11
	s_add_nc_u64 s[0:1], s[14:15], 1
	s_delay_alu instid0(SALU_CYCLE_1) | instskip(NEXT) | instid1(SALU_CYCLE_1)
	s_add_nc_u64 s[10:11], s[0:1], s[10:11]
	s_cmp_eq_u64 s[10:11], 0
	s_cselect_b32 s1, s1, s11
	s_cselect_b32 s0, s0, s10
	s_delay_alu instid0(SALU_CYCLE_1) | instskip(SKIP_1) | instid1(SALU_CYCLE_1)
	v_dual_mov_b32 v17, s1 :: v_dual_mov_b32 v16, s0
	s_and_b64 s[10:11], s[0:1], s[14:15]
	s_mul_u64 s[10:11], s[10:11], 24
	s_wait_loadcnt 0x0
	v_add_nc_u64_e32 v[14:15], s[10:11], v[12:13]
	global_store_b64 v[14:15], v[18:19], off
	global_wb scope:SCOPE_SYS
	s_wait_storecnt 0x0
	s_wait_xcnt 0x0
	global_atomic_cmpswap_b64 v[12:13], v5, v[16:19], s[2:3] offset:24 th:TH_ATOMIC_RETURN scope:SCOPE_SYS
	s_wait_loadcnt 0x0
	v_cmp_ne_u64_e32 vcc_lo, v[12:13], v[18:19]
	s_and_b32 exec_lo, exec_lo, vcc_lo
	s_cbranch_execz .LBB7_814
; %bb.888:                              ;   in Loop: Header=BB7_815 Depth=1
	s_mov_b32 s10, 0
.LBB7_889:                              ;   Parent Loop BB7_815 Depth=1
                                        ; =>  This Inner Loop Header: Depth=2
	v_dual_mov_b32 v10, s0 :: v_dual_mov_b32 v11, s1
	s_sleep 1
	global_store_b64 v[14:15], v[12:13], off
	global_wb scope:SCOPE_SYS
	s_wait_storecnt 0x0
	s_wait_xcnt 0x0
	global_atomic_cmpswap_b64 v[10:11], v5, v[10:13], s[2:3] offset:24 th:TH_ATOMIC_RETURN scope:SCOPE_SYS
	s_wait_loadcnt 0x0
	v_cmp_eq_u64_e32 vcc_lo, v[10:11], v[12:13]
	v_mov_b64_e32 v[12:13], v[10:11]
	s_or_b32 s10, vcc_lo, s10
	s_delay_alu instid0(SALU_CYCLE_1)
	s_and_not1_b32 exec_lo, exec_lo, s10
	s_cbranch_execnz .LBB7_889
	s_branch .LBB7_814
.LBB7_890:
	s_branch .LBB7_919
.LBB7_891:
	s_cbranch_execz .LBB7_919
; %bb.892:
	v_readfirstlane_b32 s0, v32
	s_wait_loadcnt 0x0
	v_mov_b64_e32 v[10:11], 0
	s_delay_alu instid0(VALU_DEP_2)
	v_cmp_eq_u32_e64 s0, s0, v32
	s_and_saveexec_b32 s1, s0
	s_cbranch_execz .LBB7_898
; %bb.893:
	v_mov_b32_e32 v1, 0
	s_mov_b32 s4, exec_lo
	global_load_b64 v[6:7], v1, s[2:3] offset:24 scope:SCOPE_SYS
	s_wait_loadcnt 0x0
	global_inv scope:SCOPE_SYS
	s_clause 0x1
	global_load_b64 v[4:5], v1, s[2:3] offset:40
	global_load_b64 v[8:9], v1, s[2:3]
	s_wait_loadcnt 0x1
	v_and_b32_e32 v4, v4, v6
	v_and_b32_e32 v5, v5, v7
	s_delay_alu instid0(VALU_DEP_1) | instskip(SKIP_1) | instid1(VALU_DEP_1)
	v_mul_u64_e32 v[4:5], 24, v[4:5]
	s_wait_loadcnt 0x0
	v_add_nc_u64_e32 v[4:5], v[8:9], v[4:5]
	global_load_b64 v[4:5], v[4:5], off scope:SCOPE_SYS
	s_wait_xcnt 0x0
	s_wait_loadcnt 0x0
	global_atomic_cmpswap_b64 v[10:11], v1, v[4:7], s[2:3] offset:24 th:TH_ATOMIC_RETURN scope:SCOPE_SYS
	s_wait_loadcnt 0x0
	global_inv scope:SCOPE_SYS
	s_wait_xcnt 0x0
	v_cmpx_ne_u64_e64 v[10:11], v[6:7]
	s_cbranch_execz .LBB7_897
; %bb.894:
	s_mov_b32 s5, 0
.LBB7_895:                              ; =>This Inner Loop Header: Depth=1
	s_sleep 1
	s_clause 0x1
	global_load_b64 v[4:5], v1, s[2:3] offset:40
	global_load_b64 v[8:9], v1, s[2:3]
	v_mov_b64_e32 v[6:7], v[10:11]
	s_wait_loadcnt 0x1
	s_delay_alu instid0(VALU_DEP_1) | instskip(SKIP_1) | instid1(VALU_DEP_1)
	v_and_b32_e32 v4, v4, v6
	s_wait_loadcnt 0x0
	v_mad_nc_u64_u32 v[8:9], v4, 24, v[8:9]
	s_delay_alu instid0(VALU_DEP_3) | instskip(NEXT) | instid1(VALU_DEP_1)
	v_and_b32_e32 v4, v5, v7
	v_mad_u32 v9, v4, 24, v9
	global_load_b64 v[4:5], v[8:9], off scope:SCOPE_SYS
	s_wait_xcnt 0x0
	s_wait_loadcnt 0x0
	global_atomic_cmpswap_b64 v[10:11], v1, v[4:7], s[2:3] offset:24 th:TH_ATOMIC_RETURN scope:SCOPE_SYS
	s_wait_loadcnt 0x0
	global_inv scope:SCOPE_SYS
	v_cmp_eq_u64_e32 vcc_lo, v[10:11], v[6:7]
	s_or_b32 s5, vcc_lo, s5
	s_wait_xcnt 0x0
	s_and_not1_b32 exec_lo, exec_lo, s5
	s_cbranch_execnz .LBB7_895
; %bb.896:
	s_or_b32 exec_lo, exec_lo, s5
.LBB7_897:
	s_delay_alu instid0(SALU_CYCLE_1)
	s_or_b32 exec_lo, exec_lo, s4
.LBB7_898:
	s_delay_alu instid0(SALU_CYCLE_1)
	s_or_b32 exec_lo, exec_lo, s1
	v_readfirstlane_b32 s4, v10
	v_mov_b32_e32 v4, 0
	v_readfirstlane_b32 s5, v11
	s_mov_b32 s1, exec_lo
	s_clause 0x1
	global_load_b64 v[12:13], v4, s[2:3] offset:40
	global_load_b128 v[6:9], v4, s[2:3]
	s_wait_loadcnt 0x1
	v_and_b32_e32 v12, s4, v12
	v_and_b32_e32 v13, s5, v13
	s_delay_alu instid0(VALU_DEP_1) | instskip(SKIP_1) | instid1(VALU_DEP_1)
	v_mul_u64_e32 v[10:11], 24, v[12:13]
	s_wait_loadcnt 0x0
	v_add_nc_u64_e32 v[10:11], v[6:7], v[10:11]
	s_wait_xcnt 0x0
	s_and_saveexec_b32 s6, s0
	s_cbranch_execz .LBB7_900
; %bb.899:
	v_mov_b64_e32 v[16:17], 0x100000002
	v_dual_mov_b32 v14, s1 :: v_dual_mov_b32 v15, v4
	global_store_b128 v[10:11], v[14:17], off offset:8
.LBB7_900:
	s_wait_xcnt 0x0
	s_or_b32 exec_lo, exec_lo, s6
	v_lshlrev_b64_e32 v[12:13], 12, v[12:13]
	s_mov_b32 s8, 0
	v_and_or_b32 v2, 0xffffff1d, v2, 34
	s_mov_b32 s10, s8
	s_mov_b32 s11, s8
	;; [unrolled: 1-line block ×3, first 2 shown]
	v_mov_b32_e32 v5, v4
	v_add_nc_u64_e32 v[8:9], v[8:9], v[12:13]
	v_mov_b64_e32 v[14:15], s[10:11]
	v_mov_b64_e32 v[12:13], s[8:9]
	s_delay_alu instid0(VALU_DEP_3) | instskip(NEXT) | instid1(VALU_DEP_4)
	v_readfirstlane_b32 s6, v8
	v_readfirstlane_b32 s7, v9
	s_clause 0x3
	global_store_b128 v0, v[2:5], s[6:7]
	global_store_b128 v0, v[12:15], s[6:7] offset:16
	global_store_b128 v0, v[12:15], s[6:7] offset:32
	;; [unrolled: 1-line block ×3, first 2 shown]
	s_wait_xcnt 0x0
	s_and_saveexec_b32 s1, s0
	s_cbranch_execz .LBB7_908
; %bb.901:
	v_dual_mov_b32 v8, 0 :: v_dual_mov_b32 v13, s5
	s_mov_b32 s6, exec_lo
	s_clause 0x1
	global_load_b64 v[14:15], v8, s[2:3] offset:32 scope:SCOPE_SYS
	global_load_b64 v[0:1], v8, s[2:3] offset:40
	s_wait_loadcnt 0x0
	v_dual_mov_b32 v12, s4 :: v_dual_bitop2_b32 v1, s5, v1 bitop3:0x40
	v_and_b32_e32 v0, s4, v0
	s_delay_alu instid0(VALU_DEP_1) | instskip(NEXT) | instid1(VALU_DEP_1)
	v_mul_u64_e32 v[0:1], 24, v[0:1]
	v_add_nc_u64_e32 v[4:5], v[6:7], v[0:1]
	global_store_b64 v[4:5], v[14:15], off
	global_wb scope:SCOPE_SYS
	s_wait_storecnt 0x0
	s_wait_xcnt 0x0
	global_atomic_cmpswap_b64 v[2:3], v8, v[12:15], s[2:3] offset:32 th:TH_ATOMIC_RETURN scope:SCOPE_SYS
	s_wait_loadcnt 0x0
	v_cmpx_ne_u64_e64 v[2:3], v[14:15]
	s_cbranch_execz .LBB7_904
; %bb.902:
	s_mov_b32 s7, 0
.LBB7_903:                              ; =>This Inner Loop Header: Depth=1
	v_dual_mov_b32 v0, s4 :: v_dual_mov_b32 v1, s5
	s_sleep 1
	global_store_b64 v[4:5], v[2:3], off
	global_wb scope:SCOPE_SYS
	s_wait_storecnt 0x0
	s_wait_xcnt 0x0
	global_atomic_cmpswap_b64 v[0:1], v8, v[0:3], s[2:3] offset:32 th:TH_ATOMIC_RETURN scope:SCOPE_SYS
	s_wait_loadcnt 0x0
	v_cmp_eq_u64_e32 vcc_lo, v[0:1], v[2:3]
	v_mov_b64_e32 v[2:3], v[0:1]
	s_or_b32 s7, vcc_lo, s7
	s_delay_alu instid0(SALU_CYCLE_1)
	s_and_not1_b32 exec_lo, exec_lo, s7
	s_cbranch_execnz .LBB7_903
.LBB7_904:
	s_or_b32 exec_lo, exec_lo, s6
	v_mov_b32_e32 v3, 0
	s_mov_b32 s7, exec_lo
	s_mov_b32 s6, exec_lo
	v_mbcnt_lo_u32_b32 v2, s7, 0
	global_load_b64 v[0:1], v3, s[2:3] offset:16
	s_wait_xcnt 0x0
	v_cmpx_eq_u32_e32 0, v2
	s_cbranch_execz .LBB7_906
; %bb.905:
	s_bcnt1_i32_b32 s7, s7
	s_delay_alu instid0(SALU_CYCLE_1)
	v_mov_b32_e32 v2, s7
	global_wb scope:SCOPE_SYS
	s_wait_loadcnt 0x0
	s_wait_storecnt 0x0
	global_atomic_add_u64 v[0:1], v[2:3], off offset:8 scope:SCOPE_SYS
.LBB7_906:
	s_wait_xcnt 0x0
	s_or_b32 exec_lo, exec_lo, s6
	s_wait_loadcnt 0x0
	global_load_b64 v[2:3], v[0:1], off offset:16
	s_wait_loadcnt 0x0
	v_cmp_eq_u64_e32 vcc_lo, 0, v[2:3]
	s_cbranch_vccnz .LBB7_908
; %bb.907:
	global_load_b32 v0, v[0:1], off offset:24
	s_wait_xcnt 0x0
	v_mov_b32_e32 v1, 0
	s_wait_loadcnt 0x0
	v_readfirstlane_b32 s6, v0
	global_wb scope:SCOPE_SYS
	s_wait_storecnt 0x0
	global_store_b64 v[2:3], v[0:1], off scope:SCOPE_SYS
	s_and_b32 m0, s6, 0xffffff
	s_sendmsg sendmsg(MSG_INTERRUPT)
.LBB7_908:
	s_wait_xcnt 0x0
	s_or_b32 exec_lo, exec_lo, s1
	s_branch .LBB7_912
.LBB7_909:                              ;   in Loop: Header=BB7_912 Depth=1
	s_wait_xcnt 0x0
	s_or_b32 exec_lo, exec_lo, s1
	s_delay_alu instid0(VALU_DEP_1)
	v_readfirstlane_b32 s1, v0
	s_cmp_eq_u32 s1, 0
	s_cbranch_scc1 .LBB7_911
; %bb.910:                              ;   in Loop: Header=BB7_912 Depth=1
	s_sleep 1
	s_cbranch_execnz .LBB7_912
	s_branch .LBB7_914
.LBB7_911:
	s_branch .LBB7_914
.LBB7_912:                              ; =>This Inner Loop Header: Depth=1
	v_mov_b32_e32 v0, 1
	s_and_saveexec_b32 s1, s0
	s_cbranch_execz .LBB7_909
; %bb.913:                              ;   in Loop: Header=BB7_912 Depth=1
	global_load_b32 v0, v[10:11], off offset:20 scope:SCOPE_SYS
	s_wait_loadcnt 0x0
	global_inv scope:SCOPE_SYS
	v_and_b32_e32 v0, 1, v0
	s_branch .LBB7_909
.LBB7_914:
	s_and_saveexec_b32 s6, s0
	s_cbranch_execz .LBB7_918
; %bb.915:
	v_mov_b32_e32 v6, 0
	s_clause 0x2
	global_load_b64 v[0:1], v6, s[2:3] offset:40
	global_load_b64 v[10:11], v6, s[2:3] offset:24 scope:SCOPE_SYS
	global_load_b64 v[2:3], v6, s[2:3]
	s_wait_loadcnt 0x2
	v_readfirstlane_b32 s8, v0
	v_readfirstlane_b32 s9, v1
	s_add_nc_u64 s[0:1], s[8:9], 1
	s_delay_alu instid0(SALU_CYCLE_1) | instskip(NEXT) | instid1(SALU_CYCLE_1)
	s_add_nc_u64 s[4:5], s[0:1], s[4:5]
	s_cmp_eq_u64 s[4:5], 0
	s_cselect_b32 s1, s1, s5
	s_cselect_b32 s0, s0, s4
	v_mov_b32_e32 v9, s1
	s_and_b64 s[4:5], s[0:1], s[8:9]
	v_mov_b32_e32 v8, s0
	s_mul_u64 s[4:5], s[4:5], 24
	s_wait_loadcnt 0x0
	v_add_nc_u64_e32 v[4:5], s[4:5], v[2:3]
	global_store_b64 v[4:5], v[10:11], off
	global_wb scope:SCOPE_SYS
	s_wait_storecnt 0x0
	s_wait_xcnt 0x0
	global_atomic_cmpswap_b64 v[2:3], v6, v[8:11], s[2:3] offset:24 th:TH_ATOMIC_RETURN scope:SCOPE_SYS
	s_wait_loadcnt 0x0
	v_cmp_ne_u64_e32 vcc_lo, v[2:3], v[10:11]
	s_and_b32 exec_lo, exec_lo, vcc_lo
	s_cbranch_execz .LBB7_918
; %bb.916:
	s_mov_b32 s4, 0
.LBB7_917:                              ; =>This Inner Loop Header: Depth=1
	v_dual_mov_b32 v0, s0 :: v_dual_mov_b32 v1, s1
	s_sleep 1
	global_store_b64 v[4:5], v[2:3], off
	global_wb scope:SCOPE_SYS
	s_wait_storecnt 0x0
	s_wait_xcnt 0x0
	global_atomic_cmpswap_b64 v[0:1], v6, v[0:3], s[2:3] offset:24 th:TH_ATOMIC_RETURN scope:SCOPE_SYS
	s_wait_loadcnt 0x0
	v_cmp_eq_u64_e32 vcc_lo, v[0:1], v[2:3]
	v_mov_b64_e32 v[2:3], v[0:1]
	s_or_b32 s4, vcc_lo, s4
	s_delay_alu instid0(SALU_CYCLE_1)
	s_and_not1_b32 exec_lo, exec_lo, s4
	s_cbranch_execnz .LBB7_917
.LBB7_918:
	s_or_b32 exec_lo, exec_lo, s6
.LBB7_919:
	s_get_pc_i64 s[0:1]
	s_add_nc_u64 s[0:1], s[0:1], .str.29@rel64+4
	s_get_pc_i64 s[2:3]
	s_add_nc_u64 s[2:3], s[2:3], .str.19@rel64+4
	s_get_pc_i64 s[4:5]
	s_add_nc_u64 s[4:5], s[4:5], __PRETTY_FUNCTION__._ZN7VecsMemIjLi8192EE5fetchEi@rel64+4
	v_dual_mov_b32 v0, s0 :: v_dual_mov_b32 v1, s1
	s_wait_loadcnt 0x0
	v_dual_mov_b32 v2, s2 :: v_dual_mov_b32 v3, s3
	v_dual_mov_b32 v4, 12 :: v_dual_mov_b32 v5, s4
	v_mov_b32_e32 v6, s5
	s_get_pc_i64 s[6:7]
	s_add_nc_u64 s[6:7], s[6:7], __assert_fail@rel64+4
	s_mov_b64 s[8:9], s[50:51]
	s_swap_pc_i64 s[30:31], s[6:7]
	s_or_b32 s17, s17, exec_lo
	s_or_b32 exec_lo, exec_lo, s21
	s_and_saveexec_b32 s0, s19
	s_delay_alu instid0(SALU_CYCLE_1)
	s_xor_b32 s19, exec_lo, s0
	s_cbranch_execz .LBB7_365
.LBB7_920:
	s_get_pc_i64 s[0:1]
	s_add_nc_u64 s[0:1], s[0:1], .str.18@rel64+4
	s_get_pc_i64 s[2:3]
	s_add_nc_u64 s[2:3], s[2:3], .str.19@rel64+4
	s_get_pc_i64 s[4:5]
	s_add_nc_u64 s[4:5], s[4:5], __PRETTY_FUNCTION__._ZN7VecsMemIjLi8192EE6shrinkEi@rel64+4
	v_dual_mov_b32 v0, s0 :: v_dual_mov_b32 v1, s1
	v_dual_mov_b32 v2, s2 :: v_dual_mov_b32 v3, s3
	;; [unrolled: 1-line block ×3, first 2 shown]
	s_wait_loadcnt 0x0
	v_mov_b32_e32 v6, s5
	s_get_pc_i64 s[6:7]
	s_add_nc_u64 s[6:7], s[6:7], __assert_fail@rel64+4
	s_mov_b64 s[8:9], s[50:51]
	s_swap_pc_i64 s[30:31], s[6:7]
	s_or_b32 s17, s17, exec_lo
	s_or_b32 exec_lo, exec_lo, s19
	s_and_saveexec_b32 s19, s18
	s_cbranch_execz .LBB7_366
.LBB7_921:
	s_get_pc_i64 s[0:1]
	s_add_nc_u64 s[0:1], s[0:1], .str.7@rel64+4
	s_get_pc_i64 s[2:3]
	s_add_nc_u64 s[2:3], s[2:3], .str.1@rel64+4
	s_get_pc_i64 s[4:5]
	s_add_nc_u64 s[4:5], s[4:5], __PRETTY_FUNCTION__._Z8resynCutPKiS0_S0_S0_PKyPKjiS0_PyPiS6_S6_PjS0_S4_ii@rel64+4
	v_dual_mov_b32 v0, s0 :: v_dual_mov_b32 v1, s1
	v_dual_mov_b32 v2, s2 :: v_dual_mov_b32 v3, s3
	;; [unrolled: 1-line block ×3, first 2 shown]
	s_wait_loadcnt 0x0
	v_mov_b32_e32 v6, s5
	s_get_pc_i64 s[6:7]
	s_add_nc_u64 s[6:7], s[6:7], __assert_fail@rel64+4
	s_mov_b64 s[8:9], s[50:51]
	s_swap_pc_i64 s[30:31], s[6:7]
	s_or_b32 s17, s17, exec_lo
	s_or_b32 exec_lo, exec_lo, s19
	s_and_saveexec_b32 s0, s17
	s_cbranch_execz .LBB7_367
.LBB7_922:
	; divergent unreachable
	s_endpgm
	.section	.rodata,"a",@progbits
	.p2align	6, 0x0
	.amdhsa_kernel _Z8resynCutPKiS0_S0_S0_PKyPKjiS0_PyPiS6_S6_PjS0_S4_ii
		.amdhsa_group_segment_fixed_size 0
		.amdhsa_private_segment_fixed_size 41440
		.amdhsa_kernarg_size 384
		.amdhsa_user_sgpr_count 2
		.amdhsa_user_sgpr_dispatch_ptr 0
		.amdhsa_user_sgpr_queue_ptr 0
		.amdhsa_user_sgpr_kernarg_segment_ptr 1
		.amdhsa_user_sgpr_dispatch_id 0
		.amdhsa_user_sgpr_kernarg_preload_length 0
		.amdhsa_user_sgpr_kernarg_preload_offset 0
		.amdhsa_user_sgpr_private_segment_size 0
		.amdhsa_wavefront_size32 1
		.amdhsa_uses_dynamic_stack 1
		.amdhsa_enable_private_segment 1
		.amdhsa_system_sgpr_workgroup_id_x 1
		.amdhsa_system_sgpr_workgroup_id_y 0
		.amdhsa_system_sgpr_workgroup_id_z 0
		.amdhsa_system_sgpr_workgroup_info 0
		.amdhsa_system_vgpr_workitem_id 0
		.amdhsa_next_free_vgpr 124
		.amdhsa_next_free_sgpr 105
		.amdhsa_named_barrier_count 0
		.amdhsa_reserve_vcc 1
		.amdhsa_float_round_mode_32 0
		.amdhsa_float_round_mode_16_64 0
		.amdhsa_float_denorm_mode_32 3
		.amdhsa_float_denorm_mode_16_64 3
		.amdhsa_fp16_overflow 0
		.amdhsa_memory_ordered 1
		.amdhsa_forward_progress 1
		.amdhsa_inst_pref_size 255
		.amdhsa_round_robin_scheduling 0
		.amdhsa_exception_fp_ieee_invalid_op 0
		.amdhsa_exception_fp_denorm_src 0
		.amdhsa_exception_fp_ieee_div_zero 0
		.amdhsa_exception_fp_ieee_overflow 0
		.amdhsa_exception_fp_ieee_underflow 0
		.amdhsa_exception_fp_ieee_inexact 0
		.amdhsa_exception_int_div_zero 0
	.end_amdhsa_kernel
	.text
.Lfunc_end7:
	.size	_Z8resynCutPKiS0_S0_S0_PKyPKjiS0_PyPiS6_S6_PjS0_S4_ii, .Lfunc_end7-_Z8resynCutPKiS0_S0_S0_PKyPKjiS0_PyPiS6_S6_PjS0_S4_ii
                                        ; -- End function
	.set _Z8resynCutPKiS0_S0_S0_PKyPKjiS0_PyPiS6_S6_PjS0_S4_ii.num_vgpr, max(124, .L_ZN3sop13minatoIsopRecEPKjS1_iPNS_3SopEP7VecsMemIjLi8192EE.num_vgpr, .L_ZN3sop12sopFactorRecEPNS_3SopEiP7VecsMemIjLi8192EEPN8subgUtil4SubgILi256EEE.num_vgpr, .L__assert_fail.num_vgpr)
	.set _Z8resynCutPKiS0_S0_S0_PKyPKjiS0_PyPiS6_S6_PjS0_S4_ii.num_agpr, max(0, .L_ZN3sop13minatoIsopRecEPKjS1_iPNS_3SopEP7VecsMemIjLi8192EE.num_agpr, .L_ZN3sop12sopFactorRecEPNS_3SopEiP7VecsMemIjLi8192EEPN8subgUtil4SubgILi256EEE.num_agpr, .L__assert_fail.num_agpr)
	.set _Z8resynCutPKiS0_S0_S0_PKyPKjiS0_PyPiS6_S6_PjS0_S4_ii.numbered_sgpr, max(105, .L_ZN3sop13minatoIsopRecEPKjS1_iPNS_3SopEP7VecsMemIjLi8192EE.numbered_sgpr, .L_ZN3sop12sopFactorRecEPNS_3SopEiP7VecsMemIjLi8192EEPN8subgUtil4SubgILi256EEE.numbered_sgpr, .L__assert_fail.numbered_sgpr)
	.set _Z8resynCutPKiS0_S0_S0_PKyPKjiS0_PyPiS6_S6_PjS0_S4_ii.num_named_barrier, max(0, .L_ZN3sop13minatoIsopRecEPKjS1_iPNS_3SopEP7VecsMemIjLi8192EE.num_named_barrier, .L_ZN3sop12sopFactorRecEPNS_3SopEiP7VecsMemIjLi8192EEPN8subgUtil4SubgILi256EEE.num_named_barrier, .L__assert_fail.num_named_barrier)
	.set _Z8resynCutPKiS0_S0_S0_PKyPKjiS0_PyPiS6_S6_PjS0_S4_ii.private_seg_size, 41088+max(.L_ZN3sop13minatoIsopRecEPKjS1_iPNS_3SopEP7VecsMemIjLi8192EE.private_seg_size, .L_ZN3sop12sopFactorRecEPNS_3SopEiP7VecsMemIjLi8192EEPN8subgUtil4SubgILi256EEE.private_seg_size, .L__assert_fail.private_seg_size)
	.set _Z8resynCutPKiS0_S0_S0_PKyPKjiS0_PyPiS6_S6_PjS0_S4_ii.uses_vcc, or(1, .L_ZN3sop13minatoIsopRecEPKjS1_iPNS_3SopEP7VecsMemIjLi8192EE.uses_vcc, .L_ZN3sop12sopFactorRecEPNS_3SopEiP7VecsMemIjLi8192EEPN8subgUtil4SubgILi256EEE.uses_vcc, .L__assert_fail.uses_vcc)
	.set _Z8resynCutPKiS0_S0_S0_PKyPKjiS0_PyPiS6_S6_PjS0_S4_ii.uses_flat_scratch, or(1, .L_ZN3sop13minatoIsopRecEPKjS1_iPNS_3SopEP7VecsMemIjLi8192EE.uses_flat_scratch, .L_ZN3sop12sopFactorRecEPNS_3SopEiP7VecsMemIjLi8192EEPN8subgUtil4SubgILi256EEE.uses_flat_scratch, .L__assert_fail.uses_flat_scratch)
	.set _Z8resynCutPKiS0_S0_S0_PKyPKjiS0_PyPiS6_S6_PjS0_S4_ii.has_dyn_sized_stack, or(0, .L_ZN3sop13minatoIsopRecEPKjS1_iPNS_3SopEP7VecsMemIjLi8192EE.has_dyn_sized_stack, .L_ZN3sop12sopFactorRecEPNS_3SopEiP7VecsMemIjLi8192EEPN8subgUtil4SubgILi256EEE.has_dyn_sized_stack, .L__assert_fail.has_dyn_sized_stack)
	.set _Z8resynCutPKiS0_S0_S0_PKyPKjiS0_PyPiS6_S6_PjS0_S4_ii.has_recursion, or(1, .L_ZN3sop13minatoIsopRecEPKjS1_iPNS_3SopEP7VecsMemIjLi8192EE.has_recursion, .L_ZN3sop12sopFactorRecEPNS_3SopEiP7VecsMemIjLi8192EEPN8subgUtil4SubgILi256EEE.has_recursion, .L__assert_fail.has_recursion)
	.set _Z8resynCutPKiS0_S0_S0_PKyPKjiS0_PyPiS6_S6_PjS0_S4_ii.has_indirect_call, or(0, .L_ZN3sop13minatoIsopRecEPKjS1_iPNS_3SopEP7VecsMemIjLi8192EE.has_indirect_call, .L_ZN3sop12sopFactorRecEPNS_3SopEiP7VecsMemIjLi8192EEPN8subgUtil4SubgILi256EEE.has_indirect_call, .L__assert_fail.has_indirect_call)
	.section	.AMDGPU.csdata,"",@progbits
; Kernel info:
; codeLenInByte = 45936
; TotalNumSgprs: 107
; NumVgprs: 124
; ScratchSize: 41440
; MemoryBound: 0
; FloatMode: 240
; IeeeMode: 1
; LDSByteSize: 0 bytes/workgroup (compile time only)
; SGPRBlocks: 0
; VGPRBlocks: 7
; NumSGPRsForWavesPerEU: 107
; NumVGPRsForWavesPerEU: 124
; NamedBarCnt: 0
; Occupancy: 8
; WaveLimiterHint : 1
; COMPUTE_PGM_RSRC2:SCRATCH_EN: 1
; COMPUTE_PGM_RSRC2:USER_SGPR: 2
; COMPUTE_PGM_RSRC2:TRAP_HANDLER: 0
; COMPUTE_PGM_RSRC2:TGID_X_EN: 1
; COMPUTE_PGM_RSRC2:TGID_Y_EN: 0
; COMPUTE_PGM_RSRC2:TGID_Z_EN: 0
; COMPUTE_PGM_RSRC2:TIDIG_COMP_CNT: 0
	.text
	.protected	_Z15factorFromTruthPKiS0_PyPiS2_S2_PKjS4_S0_S4_i ; -- Begin function _Z15factorFromTruthPKiS0_PyPiS2_S2_PKjS4_S0_S4_i
	.globl	_Z15factorFromTruthPKiS0_PyPiS2_S2_PKjS4_S0_S4_i
	.p2align	8
	.type	_Z15factorFromTruthPKiS0_PyPiS2_S2_PKjS4_S0_S4_i,@function
_Z15factorFromTruthPKiS0_PyPiS2_S2_PKjS4_S0_S4_i: ; @_Z15factorFromTruthPKiS0_PyPiS2_S2_PKjS4_S0_S4_i
; %bb.0:
	s_clause 0x1
	s_load_b32 s2, s[0:1], 0x64
	s_load_b32 s99, s[0:1], 0x50
	s_bfe_u32 s3, ttmp6, 0x4000c
	s_and_b32 s4, ttmp6, 15
	s_add_co_i32 s3, s3, 1
	s_getreg_b32 s5, hwreg(HW_REG_IB_STS2, 6, 4)
	s_mul_i32 s3, ttmp9, s3
	s_add_nc_u64 s[82:83], s[0:1], 0x58
	s_add_co_i32 s4, s4, s3
	s_mov_b32 s20, 0
	s_mov_b32 s18, 0
	;; [unrolled: 1-line block ×3, first 2 shown]
	s_mov_b32 s96, exec_lo
	s_mov_b32 s32, 0x8830
	s_get_pc_i64 s[86:87]
	s_add_nc_u64 s[86:87], s[86:87], __assert_fail@rel64+4
	s_wait_kmcnt 0x0
	s_and_b32 s2, s2, 0xffff
	s_cmp_eq_u32 s5, 0
	s_cselect_b32 s3, ttmp9, s4
	s_lshl_b32 s4, s99, 1
	v_mad_u32 v1, s3, s2, v0
	v_mov_b32_e32 v0, 0
	s_mov_b32 s2, 0
	s_mov_b32 s3, -1
	scratch_store_b32 off, v0, off offset:32792
	s_wait_xcnt 0x0
	v_cmpx_gt_i32_e64 s4, v1
	s_cbranch_execz .LBB8_406
; %bb.1:
	s_load_b512 s[36:51], s[0:1], 0x0
	v_cmp_le_i32_e64 s84, s99, v1
	v_mov_b64_e32 v[2:3], 0
	v_cmp_gt_i32_e64 s100, s99, v1
	v_mov_b32_e32 v78, 0
	s_delay_alu instid0(VALU_DEP_4) | instskip(NEXT) | instid1(VALU_DEP_1)
	v_cndmask_b32_e64 v4, 0, s99, s84
	v_sub_nc_u32_e32 v92, v1, v4
	v_cmp_ne_u32_e32 vcc_lo, v1, v4
	s_and_saveexec_b32 s2, vcc_lo
	s_cbranch_execz .LBB8_3
; %bb.2:
	s_wait_kmcnt 0x0
	global_load_b32 v78, v92, s[38:39] offset:-4 scale_offset
	v_ashrrev_i32_e32 v93, 31, v92
	s_delay_alu instid0(VALU_DEP_1)
	v_mov_b64_e32 v[2:3], v[92:93]
.LBB8_3:
	s_wait_xcnt 0x0
	s_or_b32 exec_lo, exec_lo, s2
	s_wait_kmcnt 0x0
	s_delay_alu instid0(VALU_DEP_1)
	v_lshl_add_u64 v[4:5], v[2:3], 2, s[38:39]
	s_load_b64 s[0:1], s[0:1], 0x40
	global_load_b32 v42, v[4:5], off
	s_wait_kmcnt 0x0
	v_lshl_add_u64 v[2:3], v[2:3], 2, s[0:1]
	s_wait_xcnt 0x0
	s_and_saveexec_b32 s0, vcc_lo
	s_cbranch_execz .LBB8_5
; %bb.4:
	global_load_b32 v0, v[2:3], off offset:-4
.LBB8_5:
	s_wait_xcnt 0x0
	s_or_b32 exec_lo, exec_lo, s0
	global_load_b32 v1, v[2:3], off
	s_wait_loadcnt 0x1
	v_sub_nc_u32_e32 v41, v42, v78
	s_mov_b32 s19, 0
	s_mov_b32 s97, 0
	s_mov_b32 s0, exec_lo
	s_wait_loadcnt 0x0
	v_dual_sub_nc_u32 v106, v1, v0 :: v_dual_add_nc_u32 v2, -5, v41
	v_cmp_lt_i32_e32 vcc_lo, 5, v41
	s_delay_alu instid0(VALU_DEP_2) | instskip(NEXT) | instid1(VALU_DEP_1)
	v_lshlrev_b32_e64 v2, v2, 1
	v_cndmask_b32_e32 v1, 1, v2, vcc_lo
	s_delay_alu instid0(VALU_DEP_1)
	v_cmpx_ne_u32_e64 v106, v1
	s_xor_b32 s17, exec_lo, s0
	s_cbranch_execz .LBB8_7
; %bb.6:
	s_get_pc_i64 s[0:1]
	s_add_nc_u64 s[0:1], s[0:1], .str.12@rel64+4
	s_get_pc_i64 s[2:3]
	s_add_nc_u64 s[2:3], s[2:3], .str.1@rel64+4
	s_get_pc_i64 s[4:5]
	s_add_nc_u64 s[4:5], s[4:5], __PRETTY_FUNCTION__._Z15factorFromTruthPKiS0_PyPiS2_S2_PKjS4_S0_S4_i@rel64+4
	v_dual_mov_b32 v0, s0 :: v_dual_mov_b32 v1, s1
	v_dual_mov_b32 v2, s2 :: v_dual_mov_b32 v3, s3
	;; [unrolled: 1-line block ×3, first 2 shown]
	v_mov_b32_e32 v6, s5
	s_mov_b64 s[8:9], s[82:83]
	s_swap_pc_i64 s[30:31], s[86:87]
	s_mov_b32 s97, exec_lo
                                        ; implicit-def: $vgpr106
                                        ; implicit-def: $vgpr41
                                        ; implicit-def: $vgpr0
                                        ; implicit-def: $vgpr92
                                        ; implicit-def: $vgpr78
                                        ; implicit-def: $vgpr42
.LBB8_7:
	s_or_saveexec_b32 s98, s17
	s_mov_b32 s1, 0
	s_mov_b32 s3, 0
	;; [unrolled: 1-line block ×3, first 2 shown]
	s_xor_b32 exec_lo, exec_lo, s98
	s_cbranch_execz .LBB8_405
; %bb.8:
	v_dual_mov_b32 v94, 16 :: v_dual_mov_b32 v2, s51
                                        ; implicit-def: $vgpr46 : SGPR spill to VGPR lane
	v_mbcnt_lo_u32_b32 v43, -1, 0
	v_dual_mov_b32 v4, s50 :: v_dual_mov_b32 v107, 0
	s_delay_alu instid0(VALU_DEP_3) | instskip(SKIP_1) | instid1(VALU_DEP_3)
	v_dual_ashrrev_i32 v1, 31, v0 :: v_dual_cndmask_b32 v3, s49, v2, s84
	v_writelane_b32 v46, s36, 0
	v_dual_lshlrev_b32 v95, 20, v43 :: v_dual_cndmask_b32 v2, s48, v4, s84
	v_mov_b32_e32 v4, v41
	s_get_pc_i64 s[0:1]
	s_add_nc_u64 s[0:1], s[0:1], _ZN3sop13minatoIsopRecEPKjS1_iPNS_3SopEP7VecsMemIjLi8192EE@rel64+4
	v_writelane_b32 v46, s37, 1
	v_add_nc_u64_e32 v[104:105], src_flat_scratch_base_lo, v[94:95]
	v_mov_b32_e32 v94, 0
	v_lshl_add_u64 v[74:75], v[0:1], 2, v[2:3]
	s_mov_b64 s[8:9], s[82:83]
	v_writelane_b32 v46, s38, 2
	scratch_store_b32 off, v107, off offset:16
	v_add_nc_u64_e32 v[6:7], src_flat_scratch_base_lo, v[94:95]
	v_dual_mov_b32 v0, v74 :: v_dual_mov_b32 v1, v75
	v_writelane_b32 v46, s39, 3
	v_dual_mov_b32 v2, v74 :: v_dual_mov_b32 v3, v75
	s_delay_alu instid0(VALU_DEP_4)
	v_dual_mov_b32 v8, v105 :: v_dual_mov_b32 v5, v6
	v_mov_b32_e32 v6, v7
	v_writelane_b32 v46, s40, 4
	v_mov_b32_e32 v7, v104
	v_writelane_b32 v46, s41, 5
	v_writelane_b32 v46, s42, 6
	;; [unrolled: 1-line block ×11, first 2 shown]
	s_swap_pc_i64 s[30:31], s[0:1]
	s_mov_b32 s1, 0
                                        ; implicit-def: $sgpr0
                                        ; implicit-def: $sgpr3
                                        ; implicit-def: $sgpr2
	s_branch .LBB8_10
.LBB8_9:                                ;   in Loop: Header=BB8_10 Depth=1
	s_wait_xcnt 0x0
	s_or_b32 exec_lo, exec_lo, s4
	s_xor_b32 s4, s2, -1
	s_and_b32 s5, exec_lo, s3
	s_delay_alu instid0(SALU_CYCLE_1) | instskip(SKIP_2) | instid1(SALU_CYCLE_1)
	s_or_b32 s1, s5, s1
	s_and_not1_b32 s0, s0, exec_lo
	s_and_b32 s4, s4, exec_lo
	s_or_b32 s0, s0, s4
	s_and_not1_b32 exec_lo, exec_lo, s1
	s_cbranch_execz .LBB8_12
.LBB8_10:                               ; =>This Inner Loop Header: Depth=1
	s_or_b32 s2, s2, exec_lo
	s_or_b32 s3, s3, exec_lo
	s_mov_b32 s4, exec_lo
	s_wait_xcnt 0x0
	v_cmpx_lt_i32_e32 0, v106
	s_cbranch_execz .LBB8_9
; %bb.11:                               ;   in Loop: Header=BB8_10 Depth=1
	v_add_nc_u32_e32 v106, -1, v106
	s_and_not1_b32 s3, s3, exec_lo
	s_and_not1_b32 s2, s2, exec_lo
	s_delay_alu instid0(VALU_DEP_1) | instskip(NEXT) | instid1(VALU_DEP_1)
	v_lshlrev_b64_e32 v[2:3], 2, v[106:107]
	v_add_nc_u64_e32 v[4:5], v[74:75], v[2:3]
	v_add_nc_u64_e32 v[2:3], v[0:1], v[2:3]
	global_load_b32 v6, v[4:5], off
	flat_load_b32 v7, v[2:3]
	s_wait_loadcnt_dscnt 0x0
	v_cmp_ne_u32_e32 vcc_lo, v6, v7
	s_and_b32 s5, vcc_lo, exec_lo
	s_delay_alu instid0(SALU_CYCLE_1)
	s_or_b32 s3, s3, s5
	s_branch .LBB8_9
.LBB8_12:
	s_or_b32 exec_lo, exec_lo, s1
	s_mov_b32 s80, s97
	s_and_saveexec_b32 s1, s0
	s_delay_alu instid0(SALU_CYCLE_1)
	s_xor_b32 s17, exec_lo, s1
	s_cbranch_execz .LBB8_14
; %bb.13:
	s_get_pc_i64 s[0:1]
	s_add_nc_u64 s[0:1], s[0:1], .str.15@rel64+4
	s_get_pc_i64 s[2:3]
	s_add_nc_u64 s[2:3], s[2:3], .str.16@rel64+4
	s_get_pc_i64 s[4:5]
	s_add_nc_u64 s[4:5], s[4:5], __PRETTY_FUNCTION__._ZN3sop10minatoIsopEPKjiP7VecsMemIjLi8192EE@rel64+4
	v_dual_mov_b32 v0, s0 :: v_dual_mov_b32 v1, s1
	v_dual_mov_b32 v2, s2 :: v_dual_mov_b32 v3, s3
	;; [unrolled: 1-line block ×3, first 2 shown]
	v_mov_b32_e32 v6, s5
	s_mov_b64 s[8:9], s[82:83]
	s_swap_pc_i64 s[30:31], s[86:87]
	s_or_b32 s80, s97, exec_lo
                                        ; implicit-def: $vgpr92
                                        ; implicit-def: $vgpr41
                                        ; implicit-def: $vgpr95
                                        ; implicit-def: $vgpr104_vgpr105
                                        ; implicit-def: $vgpr78
                                        ; implicit-def: $vgpr42
                                        ; implicit-def: $vgpr43
.LBB8_14:
	s_or_saveexec_b32 s28, s17
	v_readlane_b32 s36, v46, 0
	v_readlane_b32 s40, v46, 4
	;; [unrolled: 1-line block ×9, first 2 shown]
	s_mov_b32 s0, 0
	s_mov_b32 s2, 0
	;; [unrolled: 1-line block ×4, first 2 shown]
	v_readlane_b32 s37, v46, 1
	v_readlane_b32 s38, v46, 2
	;; [unrolled: 1-line block ×7, first 2 shown]
	s_xor_b32 exec_lo, exec_lo, s28
	s_cbranch_execz .LBB8_404
; %bb.15:
	scratch_load_b32 v44, off, off offset:4
	s_mov_b32 s1, 0
	s_mov_b32 s17, 0
	s_mov_b32 s0, exec_lo
	s_wait_loadcnt 0x0
	v_cmpx_lt_i32_e32 0, v44
	s_xor_b32 s2, exec_lo, s0
	s_cbranch_execz .LBB8_19
; %bb.16:
	s_mov_b32 s0, -1
	s_mov_b32 s3, exec_lo
	v_cmpx_eq_u32_e32 1, v44
	s_cbranch_execz .LBB8_18
; %bb.17:
	scratch_load_b64 v[0:1], off, off offset:8
	s_wait_loadcnt 0x0
	flat_load_b32 v0, v[0:1]
	s_wait_loadcnt_dscnt 0x0
	v_cmp_eq_u32_e32 vcc_lo, 0, v0
	v_cmp_ne_u32_e64 s0, 0, v0
	s_and_b32 s1, vcc_lo, exec_lo
	s_or_not1_b32 s0, s0, exec_lo
.LBB8_18:
	s_wait_xcnt 0x0
	s_or_b32 exec_lo, exec_lo, s3
	s_delay_alu instid0(SALU_CYCLE_1)
	s_and_b32 s17, s1, exec_lo
	s_and_b32 s1, s0, exec_lo
.LBB8_19:
	s_and_not1_saveexec_b32 s0, s2
; %bb.20:
	v_cmp_ne_u32_e32 vcc_lo, 0, v44
	s_and_not1_b32 s1, s1, exec_lo
	s_or_b32 s17, s17, exec_lo
	s_and_b32 s2, vcc_lo, exec_lo
	s_delay_alu instid0(SALU_CYCLE_1)
	s_or_b32 s1, s1, s2
; %bb.21:
	s_or_b32 exec_lo, exec_lo, s0
	s_mov_b32 s104, 0
	s_mov_b32 s0, 0
	;; [unrolled: 1-line block ×3, first 2 shown]
	s_and_saveexec_b32 s18, s1
	s_cbranch_execz .LBB8_176
; %bb.22:
	v_mov_b32_e32 v45, -1
	s_mov_b32 s19, 0
	s_mov_b32 s0, -1
	s_mov_b32 s22, s80
	s_mov_b32 s20, exec_lo
	v_cmpx_lt_i32_e32 0, v44
	s_cbranch_execz .LBB8_162
; %bb.23:
	scratch_load_b32 v1, off, off offset:16
	s_mov_b32 s21, 0
	s_mov_b32 s0, exec_lo
	s_wait_loadcnt 0x0
	v_dual_mov_b32 v45, -1 :: v_dual_add_nc_u32 v0, v1, v44
	s_wait_xcnt 0x0
	s_delay_alu instid0(VALU_DEP_1)
	v_cmpx_gt_i32_e32 0x2001, v0
	s_xor_b32 s0, exec_lo, s0
	s_cbranch_execz .LBB8_25
; %bb.24:
	v_lshlrev_b32_e32 v1, 2, v1
	s_mov_b32 s21, exec_lo
	scratch_store_b32 off, v0, off offset:16
	v_add3_u32 v45, 16, v1, 4
.LBB8_25:
	s_wait_xcnt 0x0
	s_or_saveexec_b32 s22, s0
	s_mov_b32 s0, s80
	s_xor_b32 exec_lo, exec_lo, s22
	s_cbranch_execz .LBB8_161
; %bb.26:
	s_load_b64 s[2:3], s[82:83], 0x50
	v_readfirstlane_b32 s0, v43
	v_mov_b64_e32 v[2:3], 0
	s_delay_alu instid0(VALU_DEP_2)
	v_cmp_eq_u32_e64 s0, s0, v43
	s_and_saveexec_b32 s1, s0
	s_cbranch_execz .LBB8_32
; %bb.27:
	v_mov_b32_e32 v0, 0
	s_mov_b32 s4, exec_lo
	s_wait_kmcnt 0x0
	global_load_b64 v[4:5], v0, s[2:3] offset:24 scope:SCOPE_SYS
	s_wait_loadcnt 0x0
	global_inv scope:SCOPE_SYS
	s_clause 0x1
	global_load_b64 v[2:3], v0, s[2:3] offset:40
	global_load_b64 v[6:7], v0, s[2:3]
	s_wait_loadcnt 0x1
	v_and_b32_e32 v2, v2, v4
	v_and_b32_e32 v3, v3, v5
	s_delay_alu instid0(VALU_DEP_1) | instskip(SKIP_1) | instid1(VALU_DEP_1)
	v_mul_u64_e32 v[2:3], 24, v[2:3]
	s_wait_loadcnt 0x0
	v_add_nc_u64_e32 v[2:3], v[6:7], v[2:3]
	global_load_b64 v[2:3], v[2:3], off scope:SCOPE_SYS
	s_wait_xcnt 0x0
	s_wait_loadcnt 0x0
	global_atomic_cmpswap_b64 v[2:3], v0, v[2:5], s[2:3] offset:24 th:TH_ATOMIC_RETURN scope:SCOPE_SYS
	s_wait_loadcnt 0x0
	global_inv scope:SCOPE_SYS
	s_wait_xcnt 0x0
	v_cmpx_ne_u64_e64 v[2:3], v[4:5]
	s_cbranch_execz .LBB8_31
; %bb.28:
	s_mov_b32 s5, 0
.LBB8_29:                               ; =>This Inner Loop Header: Depth=1
	s_sleep 1
	s_clause 0x1
	global_load_b64 v[6:7], v0, s[2:3] offset:40
	global_load_b64 v[8:9], v0, s[2:3]
	v_mov_b64_e32 v[4:5], v[2:3]
	s_wait_loadcnt 0x1
	s_delay_alu instid0(VALU_DEP_1) | instskip(SKIP_1) | instid1(VALU_DEP_1)
	v_and_b32_e32 v1, v6, v4
	s_wait_loadcnt 0x0
	v_mad_nc_u64_u32 v[2:3], v1, 24, v[8:9]
	s_delay_alu instid0(VALU_DEP_3) | instskip(NEXT) | instid1(VALU_DEP_1)
	v_and_b32_e32 v1, v7, v5
	v_mad_u32 v3, v1, 24, v3
	global_load_b64 v[2:3], v[2:3], off scope:SCOPE_SYS
	s_wait_xcnt 0x0
	s_wait_loadcnt 0x0
	global_atomic_cmpswap_b64 v[2:3], v0, v[2:5], s[2:3] offset:24 th:TH_ATOMIC_RETURN scope:SCOPE_SYS
	s_wait_loadcnt 0x0
	global_inv scope:SCOPE_SYS
	v_cmp_eq_u64_e32 vcc_lo, v[2:3], v[4:5]
	s_or_b32 s5, vcc_lo, s5
	s_wait_xcnt 0x0
	s_and_not1_b32 exec_lo, exec_lo, s5
	s_cbranch_execnz .LBB8_29
; %bb.30:
	s_or_b32 exec_lo, exec_lo, s5
.LBB8_31:
	s_delay_alu instid0(SALU_CYCLE_1)
	s_or_b32 exec_lo, exec_lo, s4
.LBB8_32:
	s_delay_alu instid0(SALU_CYCLE_1)
	s_or_b32 exec_lo, exec_lo, s1
	v_readfirstlane_b32 s4, v2
	v_mov_b32_e32 v1, 0
	v_readfirstlane_b32 s5, v3
	s_mov_b32 s1, exec_lo
	s_wait_kmcnt 0x0
	s_clause 0x1
	global_load_b64 v[8:9], v1, s[2:3] offset:40
	global_load_b128 v[4:7], v1, s[2:3]
	s_wait_loadcnt 0x1
	v_and_b32_e32 v10, s4, v8
	v_and_b32_e32 v11, s5, v9
	s_delay_alu instid0(VALU_DEP_1) | instskip(SKIP_1) | instid1(VALU_DEP_1)
	v_mul_u64_e32 v[2:3], 24, v[10:11]
	s_wait_loadcnt 0x0
	v_add_nc_u64_e32 v[8:9], v[4:5], v[2:3]
	s_wait_xcnt 0x0
	s_and_saveexec_b32 s6, s0
	s_cbranch_execz .LBB8_34
; %bb.33:
	v_mov_b64_e32 v[2:3], 0x100000002
	v_mov_b32_e32 v0, s1
	global_store_b128 v[8:9], v[0:3], off offset:8
.LBB8_34:
	s_wait_xcnt 0x0
	s_or_b32 exec_lo, exec_lo, s6
	v_lshlrev_b64_e32 v[2:3], 12, v[10:11]
	s_mov_b32 s8, 0
	v_dual_lshlrev_b32 v0, 6, v43 :: v_dual_mov_b32 v10, 33
	s_mov_b32 s10, s8
	s_mov_b32 s11, s8
	;; [unrolled: 1-line block ×3, first 2 shown]
	s_delay_alu instid0(VALU_DEP_2)
	v_add_nc_u64_e32 v[6:7], v[6:7], v[2:3]
	v_mov_b64_e32 v[16:17], s[10:11]
	v_mov_b64_e32 v[14:15], s[8:9]
	v_dual_mov_b32 v11, v1 :: v_dual_mov_b32 v12, v1
	v_mov_b32_e32 v13, v1
	v_readfirstlane_b32 s6, v6
	v_readfirstlane_b32 s7, v7
	s_clause 0x3
	global_store_b128 v0, v[10:13], s[6:7]
	global_store_b128 v0, v[14:17], s[6:7] offset:16
	global_store_b128 v0, v[14:17], s[6:7] offset:32
	;; [unrolled: 1-line block ×3, first 2 shown]
	s_wait_xcnt 0x0
	s_and_saveexec_b32 s1, s0
	s_cbranch_execz .LBB8_42
; %bb.35:
	v_dual_mov_b32 v12, 0 :: v_dual_mov_b32 v15, s5
	s_mov_b32 s6, exec_lo
	s_clause 0x1
	global_load_b64 v[16:17], v12, s[2:3] offset:32 scope:SCOPE_SYS
	global_load_b64 v[2:3], v12, s[2:3] offset:40
	s_wait_loadcnt 0x0
	v_dual_mov_b32 v14, s4 :: v_dual_bitop2_b32 v3, s5, v3 bitop3:0x40
	v_and_b32_e32 v2, s4, v2
	s_delay_alu instid0(VALU_DEP_1) | instskip(NEXT) | instid1(VALU_DEP_1)
	v_mul_u64_e32 v[2:3], 24, v[2:3]
	v_add_nc_u64_e32 v[10:11], v[4:5], v[2:3]
	global_store_b64 v[10:11], v[16:17], off
	global_wb scope:SCOPE_SYS
	s_wait_storecnt 0x0
	s_wait_xcnt 0x0
	global_atomic_cmpswap_b64 v[4:5], v12, v[14:17], s[2:3] offset:32 th:TH_ATOMIC_RETURN scope:SCOPE_SYS
	s_wait_loadcnt 0x0
	v_cmpx_ne_u64_e64 v[4:5], v[16:17]
	s_cbranch_execz .LBB8_38
; %bb.36:
	s_mov_b32 s7, 0
.LBB8_37:                               ; =>This Inner Loop Header: Depth=1
	v_dual_mov_b32 v2, s4 :: v_dual_mov_b32 v3, s5
	s_sleep 1
	global_store_b64 v[10:11], v[4:5], off
	global_wb scope:SCOPE_SYS
	s_wait_storecnt 0x0
	s_wait_xcnt 0x0
	global_atomic_cmpswap_b64 v[2:3], v12, v[2:5], s[2:3] offset:32 th:TH_ATOMIC_RETURN scope:SCOPE_SYS
	s_wait_loadcnt 0x0
	v_cmp_eq_u64_e32 vcc_lo, v[2:3], v[4:5]
	v_mov_b64_e32 v[4:5], v[2:3]
	s_or_b32 s7, vcc_lo, s7
	s_delay_alu instid0(SALU_CYCLE_1)
	s_and_not1_b32 exec_lo, exec_lo, s7
	s_cbranch_execnz .LBB8_37
.LBB8_38:
	s_or_b32 exec_lo, exec_lo, s6
	v_mov_b32_e32 v5, 0
	s_mov_b32 s7, exec_lo
	s_mov_b32 s6, exec_lo
	v_mbcnt_lo_u32_b32 v4, s7, 0
	global_load_b64 v[2:3], v5, s[2:3] offset:16
	s_wait_xcnt 0x0
	v_cmpx_eq_u32_e32 0, v4
	s_cbranch_execz .LBB8_40
; %bb.39:
	s_bcnt1_i32_b32 s7, s7
	s_delay_alu instid0(SALU_CYCLE_1)
	v_mov_b32_e32 v4, s7
	global_wb scope:SCOPE_SYS
	s_wait_loadcnt 0x0
	s_wait_storecnt 0x0
	global_atomic_add_u64 v[2:3], v[4:5], off offset:8 scope:SCOPE_SYS
.LBB8_40:
	s_wait_xcnt 0x0
	s_or_b32 exec_lo, exec_lo, s6
	s_wait_loadcnt 0x0
	global_load_b64 v[4:5], v[2:3], off offset:16
	s_wait_loadcnt 0x0
	v_cmp_eq_u64_e32 vcc_lo, 0, v[4:5]
	s_cbranch_vccnz .LBB8_42
; %bb.41:
	global_load_b32 v2, v[2:3], off offset:24
	s_wait_xcnt 0x0
	v_mov_b32_e32 v3, 0
	s_wait_loadcnt 0x0
	v_readfirstlane_b32 s6, v2
	global_wb scope:SCOPE_SYS
	s_wait_storecnt 0x0
	global_store_b64 v[4:5], v[2:3], off scope:SCOPE_SYS
	s_and_b32 m0, s6, 0xffffff
	s_sendmsg sendmsg(MSG_INTERRUPT)
.LBB8_42:
	s_wait_xcnt 0x0
	s_or_b32 exec_lo, exec_lo, s1
	v_add_nc_u64_e32 v[2:3], v[6:7], v[0:1]
	s_branch .LBB8_46
.LBB8_43:                               ;   in Loop: Header=BB8_46 Depth=1
	s_wait_xcnt 0x0
	s_or_b32 exec_lo, exec_lo, s1
	s_delay_alu instid0(VALU_DEP_1)
	v_readfirstlane_b32 s1, v1
	s_cmp_eq_u32 s1, 0
	s_cbranch_scc1 .LBB8_45
; %bb.44:                               ;   in Loop: Header=BB8_46 Depth=1
	s_sleep 1
	s_cbranch_execnz .LBB8_46
	s_branch .LBB8_48
.LBB8_45:
	s_branch .LBB8_48
.LBB8_46:                               ; =>This Inner Loop Header: Depth=1
	v_mov_b32_e32 v1, 1
	s_and_saveexec_b32 s1, s0
	s_cbranch_execz .LBB8_43
; %bb.47:                               ;   in Loop: Header=BB8_46 Depth=1
	global_load_b32 v1, v[8:9], off offset:20 scope:SCOPE_SYS
	s_wait_loadcnt 0x0
	global_inv scope:SCOPE_SYS
	v_and_b32_e32 v1, 1, v1
	s_branch .LBB8_43
.LBB8_48:
	global_load_b64 v[2:3], v[2:3], off
	s_wait_xcnt 0x0
	s_and_saveexec_b32 s6, s0
	s_cbranch_execz .LBB8_52
; %bb.49:
	v_mov_b32_e32 v1, 0
	s_clause 0x2
	global_load_b64 v[4:5], v1, s[2:3] offset:40
	global_load_b64 v[12:13], v1, s[2:3] offset:24 scope:SCOPE_SYS
	global_load_b64 v[6:7], v1, s[2:3]
	s_wait_loadcnt 0x2
	v_readfirstlane_b32 s8, v4
	v_readfirstlane_b32 s9, v5
	s_add_nc_u64 s[0:1], s[8:9], 1
	s_delay_alu instid0(SALU_CYCLE_1) | instskip(NEXT) | instid1(SALU_CYCLE_1)
	s_add_nc_u64 s[4:5], s[0:1], s[4:5]
	s_cmp_eq_u64 s[4:5], 0
	s_cselect_b32 s1, s1, s5
	s_cselect_b32 s0, s0, s4
	v_mov_b32_e32 v11, s1
	s_and_b64 s[4:5], s[0:1], s[8:9]
	v_mov_b32_e32 v10, s0
	s_mul_u64 s[4:5], s[4:5], 24
	s_wait_loadcnt 0x0
	v_add_nc_u64_e32 v[8:9], s[4:5], v[6:7]
	global_store_b64 v[8:9], v[12:13], off
	global_wb scope:SCOPE_SYS
	s_wait_storecnt 0x0
	s_wait_xcnt 0x0
	global_atomic_cmpswap_b64 v[6:7], v1, v[10:13], s[2:3] offset:24 th:TH_ATOMIC_RETURN scope:SCOPE_SYS
	s_wait_loadcnt 0x0
	v_cmp_ne_u64_e32 vcc_lo, v[6:7], v[12:13]
	s_and_b32 exec_lo, exec_lo, vcc_lo
	s_cbranch_execz .LBB8_52
; %bb.50:
	s_mov_b32 s4, 0
.LBB8_51:                               ; =>This Inner Loop Header: Depth=1
	v_dual_mov_b32 v4, s0 :: v_dual_mov_b32 v5, s1
	s_sleep 1
	global_store_b64 v[8:9], v[6:7], off
	global_wb scope:SCOPE_SYS
	s_wait_storecnt 0x0
	s_wait_xcnt 0x0
	global_atomic_cmpswap_b64 v[4:5], v1, v[4:7], s[2:3] offset:24 th:TH_ATOMIC_RETURN scope:SCOPE_SYS
	s_wait_loadcnt 0x0
	v_cmp_eq_u64_e32 vcc_lo, v[4:5], v[6:7]
	v_mov_b64_e32 v[6:7], v[4:5]
	s_or_b32 s4, vcc_lo, s4
	s_delay_alu instid0(SALU_CYCLE_1)
	s_and_not1_b32 exec_lo, exec_lo, s4
	s_cbranch_execnz .LBB8_51
.LBB8_52:
	s_or_b32 exec_lo, exec_lo, s6
	s_get_pc_i64 s[4:5]
	s_add_nc_u64 s[4:5], s[4:5], .str.28@rel64+4
	s_delay_alu instid0(SALU_CYCLE_1)
	s_cmp_lg_u64 s[4:5], 0
	s_cbranch_scc0 .LBB8_131
; %bb.53:
	v_mov_b64_e32 v[6:7], 0x100000002
	s_wait_loadcnt 0x0
	v_dual_mov_b32 v9, v3 :: v_dual_bitop2_b32 v8, -3, v2 bitop3:0x40
	v_mov_b32_e32 v5, 0
	s_mov_b64 s[6:7], 35
	s_branch .LBB8_55
.LBB8_54:                               ;   in Loop: Header=BB8_55 Depth=1
	s_or_b32 exec_lo, exec_lo, s12
	s_sub_nc_u64 s[6:7], s[6:7], s[8:9]
	s_add_nc_u64 s[4:5], s[4:5], s[8:9]
	s_cmp_lg_u64 s[6:7], 0
	s_cbranch_scc0 .LBB8_130
.LBB8_55:                               ; =>This Loop Header: Depth=1
                                        ;     Child Loop BB8_58 Depth 2
                                        ;     Child Loop BB8_65 Depth 2
	;; [unrolled: 1-line block ×11, first 2 shown]
	s_wait_loadcnt 0x0
	v_min_u64 v[10:11], s[6:7], 56
	v_cmp_gt_u64_e64 s0, s[6:7], 7
	s_and_b32 vcc_lo, exec_lo, s0
	v_readfirstlane_b32 s8, v10
	v_readfirstlane_b32 s9, v11
	s_cbranch_vccnz .LBB8_60
; %bb.56:                               ;   in Loop: Header=BB8_55 Depth=1
	v_mov_b64_e32 v[10:11], 0
	s_cmp_eq_u64 s[6:7], 0
	s_cbranch_scc1 .LBB8_59
; %bb.57:                               ;   in Loop: Header=BB8_55 Depth=1
	s_mov_b64 s[0:1], 0
	s_mov_b64 s[10:11], 0
.LBB8_58:                               ;   Parent Loop BB8_55 Depth=1
                                        ; =>  This Inner Loop Header: Depth=2
	s_wait_xcnt 0x0
	s_add_nc_u64 s[12:13], s[4:5], s[10:11]
	s_add_nc_u64 s[10:11], s[10:11], 1
	global_load_u8 v1, v5, s[12:13]
	s_cmp_lg_u32 s8, s10
	s_wait_loadcnt 0x0
	v_and_b32_e32 v4, 0xffff, v1
	s_delay_alu instid0(VALU_DEP_1) | instskip(SKIP_1) | instid1(VALU_DEP_1)
	v_lshlrev_b64_e32 v[12:13], s0, v[4:5]
	s_add_nc_u64 s[0:1], s[0:1], 8
	v_or_b32_e32 v10, v12, v10
	s_delay_alu instid0(VALU_DEP_2)
	v_or_b32_e32 v11, v13, v11
	s_cbranch_scc1 .LBB8_58
.LBB8_59:                               ;   in Loop: Header=BB8_55 Depth=1
	s_mov_b64 s[10:11], s[4:5]
	s_mov_b32 s14, 0
	s_cbranch_execz .LBB8_61
	s_branch .LBB8_62
.LBB8_60:                               ;   in Loop: Header=BB8_55 Depth=1
	s_add_nc_u64 s[10:11], s[4:5], 8
	s_mov_b32 s14, 0
.LBB8_61:                               ;   in Loop: Header=BB8_55 Depth=1
	global_load_b64 v[10:11], v5, s[4:5]
	s_add_co_i32 s14, s8, -8
.LBB8_62:                               ;   in Loop: Header=BB8_55 Depth=1
	s_delay_alu instid0(SALU_CYCLE_1)
	s_cmp_gt_u32 s14, 7
	s_cbranch_scc1 .LBB8_67
; %bb.63:                               ;   in Loop: Header=BB8_55 Depth=1
	v_mov_b64_e32 v[12:13], 0
	s_cmp_eq_u32 s14, 0
	s_cbranch_scc1 .LBB8_66
; %bb.64:                               ;   in Loop: Header=BB8_55 Depth=1
	s_mov_b64 s[0:1], 0
	s_wait_xcnt 0x0
	s_mov_b64 s[12:13], 0
.LBB8_65:                               ;   Parent Loop BB8_55 Depth=1
                                        ; =>  This Inner Loop Header: Depth=2
	s_wait_xcnt 0x0
	s_add_nc_u64 s[24:25], s[10:11], s[12:13]
	s_add_nc_u64 s[12:13], s[12:13], 1
	global_load_u8 v1, v5, s[24:25]
	s_cmp_lg_u32 s14, s12
	s_wait_loadcnt 0x0
	v_and_b32_e32 v4, 0xffff, v1
	s_delay_alu instid0(VALU_DEP_1) | instskip(SKIP_1) | instid1(VALU_DEP_1)
	v_lshlrev_b64_e32 v[14:15], s0, v[4:5]
	s_add_nc_u64 s[0:1], s[0:1], 8
	v_or_b32_e32 v12, v14, v12
	s_delay_alu instid0(VALU_DEP_2)
	v_or_b32_e32 v13, v15, v13
	s_cbranch_scc1 .LBB8_65
.LBB8_66:                               ;   in Loop: Header=BB8_55 Depth=1
	s_wait_xcnt 0x0
	s_mov_b64 s[0:1], s[10:11]
	s_mov_b32 s15, 0
	s_cbranch_execz .LBB8_68
	s_branch .LBB8_69
.LBB8_67:                               ;   in Loop: Header=BB8_55 Depth=1
	s_add_nc_u64 s[0:1], s[10:11], 8
	s_wait_xcnt 0x0
                                        ; implicit-def: $vgpr12_vgpr13
	s_mov_b32 s15, 0
.LBB8_68:                               ;   in Loop: Header=BB8_55 Depth=1
	global_load_b64 v[12:13], v5, s[10:11]
	s_add_co_i32 s15, s14, -8
.LBB8_69:                               ;   in Loop: Header=BB8_55 Depth=1
	s_delay_alu instid0(SALU_CYCLE_1)
	s_cmp_gt_u32 s15, 7
	s_cbranch_scc1 .LBB8_74
; %bb.70:                               ;   in Loop: Header=BB8_55 Depth=1
	v_mov_b64_e32 v[14:15], 0
	s_cmp_eq_u32 s15, 0
	s_cbranch_scc1 .LBB8_73
; %bb.71:                               ;   in Loop: Header=BB8_55 Depth=1
	s_wait_xcnt 0x0
	s_mov_b64 s[10:11], 0
	s_mov_b64 s[12:13], 0
.LBB8_72:                               ;   Parent Loop BB8_55 Depth=1
                                        ; =>  This Inner Loop Header: Depth=2
	s_wait_xcnt 0x0
	s_add_nc_u64 s[24:25], s[0:1], s[12:13]
	s_add_nc_u64 s[12:13], s[12:13], 1
	global_load_u8 v1, v5, s[24:25]
	s_cmp_lg_u32 s15, s12
	s_wait_loadcnt 0x0
	v_and_b32_e32 v4, 0xffff, v1
	s_delay_alu instid0(VALU_DEP_1) | instskip(SKIP_1) | instid1(VALU_DEP_1)
	v_lshlrev_b64_e32 v[16:17], s10, v[4:5]
	s_add_nc_u64 s[10:11], s[10:11], 8
	v_or_b32_e32 v14, v16, v14
	s_delay_alu instid0(VALU_DEP_2)
	v_or_b32_e32 v15, v17, v15
	s_cbranch_scc1 .LBB8_72
.LBB8_73:                               ;   in Loop: Header=BB8_55 Depth=1
	s_wait_xcnt 0x0
	s_mov_b64 s[10:11], s[0:1]
	s_mov_b32 s14, 0
	s_cbranch_execz .LBB8_75
	s_branch .LBB8_76
.LBB8_74:                               ;   in Loop: Header=BB8_55 Depth=1
	s_wait_xcnt 0x0
	s_add_nc_u64 s[10:11], s[0:1], 8
	s_mov_b32 s14, 0
.LBB8_75:                               ;   in Loop: Header=BB8_55 Depth=1
	global_load_b64 v[14:15], v5, s[0:1]
	s_add_co_i32 s14, s15, -8
.LBB8_76:                               ;   in Loop: Header=BB8_55 Depth=1
	s_delay_alu instid0(SALU_CYCLE_1)
	s_cmp_gt_u32 s14, 7
	s_cbranch_scc1 .LBB8_81
; %bb.77:                               ;   in Loop: Header=BB8_55 Depth=1
	v_mov_b64_e32 v[16:17], 0
	s_cmp_eq_u32 s14, 0
	s_cbranch_scc1 .LBB8_80
; %bb.78:                               ;   in Loop: Header=BB8_55 Depth=1
	s_wait_xcnt 0x0
	s_mov_b64 s[0:1], 0
	s_mov_b64 s[12:13], 0
.LBB8_79:                               ;   Parent Loop BB8_55 Depth=1
                                        ; =>  This Inner Loop Header: Depth=2
	s_wait_xcnt 0x0
	s_add_nc_u64 s[24:25], s[10:11], s[12:13]
	s_add_nc_u64 s[12:13], s[12:13], 1
	global_load_u8 v1, v5, s[24:25]
	s_cmp_lg_u32 s14, s12
	s_wait_loadcnt 0x0
	v_and_b32_e32 v4, 0xffff, v1
	s_delay_alu instid0(VALU_DEP_1) | instskip(SKIP_1) | instid1(VALU_DEP_1)
	v_lshlrev_b64_e32 v[18:19], s0, v[4:5]
	s_add_nc_u64 s[0:1], s[0:1], 8
	v_or_b32_e32 v16, v18, v16
	s_delay_alu instid0(VALU_DEP_2)
	v_or_b32_e32 v17, v19, v17
	s_cbranch_scc1 .LBB8_79
.LBB8_80:                               ;   in Loop: Header=BB8_55 Depth=1
	s_wait_xcnt 0x0
	s_mov_b64 s[0:1], s[10:11]
	s_mov_b32 s15, 0
	s_cbranch_execz .LBB8_82
	s_branch .LBB8_83
.LBB8_81:                               ;   in Loop: Header=BB8_55 Depth=1
	s_wait_xcnt 0x0
	s_add_nc_u64 s[0:1], s[10:11], 8
                                        ; implicit-def: $vgpr16_vgpr17
	s_mov_b32 s15, 0
.LBB8_82:                               ;   in Loop: Header=BB8_55 Depth=1
	global_load_b64 v[16:17], v5, s[10:11]
	s_add_co_i32 s15, s14, -8
.LBB8_83:                               ;   in Loop: Header=BB8_55 Depth=1
	s_delay_alu instid0(SALU_CYCLE_1)
	s_cmp_gt_u32 s15, 7
	s_cbranch_scc1 .LBB8_88
; %bb.84:                               ;   in Loop: Header=BB8_55 Depth=1
	v_mov_b64_e32 v[18:19], 0
	s_cmp_eq_u32 s15, 0
	s_cbranch_scc1 .LBB8_87
; %bb.85:                               ;   in Loop: Header=BB8_55 Depth=1
	s_wait_xcnt 0x0
	s_mov_b64 s[10:11], 0
	s_mov_b64 s[12:13], 0
.LBB8_86:                               ;   Parent Loop BB8_55 Depth=1
                                        ; =>  This Inner Loop Header: Depth=2
	s_wait_xcnt 0x0
	s_add_nc_u64 s[24:25], s[0:1], s[12:13]
	s_add_nc_u64 s[12:13], s[12:13], 1
	global_load_u8 v1, v5, s[24:25]
	s_cmp_lg_u32 s15, s12
	s_wait_loadcnt 0x0
	v_and_b32_e32 v4, 0xffff, v1
	s_delay_alu instid0(VALU_DEP_1) | instskip(SKIP_1) | instid1(VALU_DEP_1)
	v_lshlrev_b64_e32 v[20:21], s10, v[4:5]
	s_add_nc_u64 s[10:11], s[10:11], 8
	v_or_b32_e32 v18, v20, v18
	s_delay_alu instid0(VALU_DEP_2)
	v_or_b32_e32 v19, v21, v19
	s_cbranch_scc1 .LBB8_86
.LBB8_87:                               ;   in Loop: Header=BB8_55 Depth=1
	s_wait_xcnt 0x0
	s_mov_b64 s[10:11], s[0:1]
	s_mov_b32 s14, 0
	s_cbranch_execz .LBB8_89
	s_branch .LBB8_90
.LBB8_88:                               ;   in Loop: Header=BB8_55 Depth=1
	s_wait_xcnt 0x0
	s_add_nc_u64 s[10:11], s[0:1], 8
	s_mov_b32 s14, 0
.LBB8_89:                               ;   in Loop: Header=BB8_55 Depth=1
	global_load_b64 v[18:19], v5, s[0:1]
	s_add_co_i32 s14, s15, -8
.LBB8_90:                               ;   in Loop: Header=BB8_55 Depth=1
	s_delay_alu instid0(SALU_CYCLE_1)
	s_cmp_gt_u32 s14, 7
	s_cbranch_scc1 .LBB8_95
; %bb.91:                               ;   in Loop: Header=BB8_55 Depth=1
	v_mov_b64_e32 v[20:21], 0
	s_cmp_eq_u32 s14, 0
	s_cbranch_scc1 .LBB8_94
; %bb.92:                               ;   in Loop: Header=BB8_55 Depth=1
	s_wait_xcnt 0x0
	s_mov_b64 s[0:1], 0
	s_mov_b64 s[12:13], 0
.LBB8_93:                               ;   Parent Loop BB8_55 Depth=1
                                        ; =>  This Inner Loop Header: Depth=2
	s_wait_xcnt 0x0
	s_add_nc_u64 s[24:25], s[10:11], s[12:13]
	s_add_nc_u64 s[12:13], s[12:13], 1
	global_load_u8 v1, v5, s[24:25]
	s_cmp_lg_u32 s14, s12
	s_wait_loadcnt 0x0
	v_and_b32_e32 v4, 0xffff, v1
	s_delay_alu instid0(VALU_DEP_1) | instskip(SKIP_1) | instid1(VALU_DEP_1)
	v_lshlrev_b64_e32 v[22:23], s0, v[4:5]
	s_add_nc_u64 s[0:1], s[0:1], 8
	v_or_b32_e32 v20, v22, v20
	s_delay_alu instid0(VALU_DEP_2)
	v_or_b32_e32 v21, v23, v21
	s_cbranch_scc1 .LBB8_93
.LBB8_94:                               ;   in Loop: Header=BB8_55 Depth=1
	s_wait_xcnt 0x0
	s_mov_b64 s[0:1], s[10:11]
	s_mov_b32 s15, 0
	s_cbranch_execz .LBB8_96
	s_branch .LBB8_97
.LBB8_95:                               ;   in Loop: Header=BB8_55 Depth=1
	s_wait_xcnt 0x0
	s_add_nc_u64 s[0:1], s[10:11], 8
                                        ; implicit-def: $vgpr20_vgpr21
	s_mov_b32 s15, 0
.LBB8_96:                               ;   in Loop: Header=BB8_55 Depth=1
	global_load_b64 v[20:21], v5, s[10:11]
	s_add_co_i32 s15, s14, -8
.LBB8_97:                               ;   in Loop: Header=BB8_55 Depth=1
	s_delay_alu instid0(SALU_CYCLE_1)
	s_cmp_gt_u32 s15, 7
	s_cbranch_scc1 .LBB8_102
; %bb.98:                               ;   in Loop: Header=BB8_55 Depth=1
	v_mov_b64_e32 v[22:23], 0
	s_cmp_eq_u32 s15, 0
	s_cbranch_scc1 .LBB8_101
; %bb.99:                               ;   in Loop: Header=BB8_55 Depth=1
	s_wait_xcnt 0x0
	s_mov_b64 s[10:11], 0
	s_mov_b64 s[12:13], s[0:1]
.LBB8_100:                              ;   Parent Loop BB8_55 Depth=1
                                        ; =>  This Inner Loop Header: Depth=2
	global_load_u8 v1, v5, s[12:13]
	s_add_co_i32 s15, s15, -1
	s_wait_xcnt 0x0
	s_add_nc_u64 s[12:13], s[12:13], 1
	s_cmp_lg_u32 s15, 0
	s_wait_loadcnt 0x0
	v_and_b32_e32 v4, 0xffff, v1
	s_delay_alu instid0(VALU_DEP_1) | instskip(SKIP_1) | instid1(VALU_DEP_1)
	v_lshlrev_b64_e32 v[24:25], s10, v[4:5]
	s_add_nc_u64 s[10:11], s[10:11], 8
	v_or_b32_e32 v22, v24, v22
	s_delay_alu instid0(VALU_DEP_2)
	v_or_b32_e32 v23, v25, v23
	s_cbranch_scc1 .LBB8_100
.LBB8_101:                              ;   in Loop: Header=BB8_55 Depth=1
	s_wait_xcnt 0x0
	s_cbranch_execz .LBB8_103
	s_branch .LBB8_104
.LBB8_102:                              ;   in Loop: Header=BB8_55 Depth=1
	s_wait_xcnt 0x0
.LBB8_103:                              ;   in Loop: Header=BB8_55 Depth=1
	global_load_b64 v[22:23], v5, s[0:1]
.LBB8_104:                              ;   in Loop: Header=BB8_55 Depth=1
	s_wait_xcnt 0x0
	v_readfirstlane_b32 s0, v43
	v_mov_b64_e32 v[28:29], 0
	s_delay_alu instid0(VALU_DEP_2)
	v_cmp_eq_u32_e64 s0, s0, v43
	s_and_saveexec_b32 s1, s0
	s_cbranch_execz .LBB8_110
; %bb.105:                              ;   in Loop: Header=BB8_55 Depth=1
	global_load_b64 v[26:27], v5, s[2:3] offset:24 scope:SCOPE_SYS
	s_wait_loadcnt 0x0
	global_inv scope:SCOPE_SYS
	s_clause 0x1
	global_load_b64 v[24:25], v5, s[2:3] offset:40
	global_load_b64 v[28:29], v5, s[2:3]
	s_mov_b32 s10, exec_lo
	s_wait_loadcnt 0x1
	v_and_b32_e32 v24, v24, v26
	v_and_b32_e32 v25, v25, v27
	s_delay_alu instid0(VALU_DEP_1) | instskip(SKIP_1) | instid1(VALU_DEP_1)
	v_mul_u64_e32 v[24:25], 24, v[24:25]
	s_wait_loadcnt 0x0
	v_add_nc_u64_e32 v[24:25], v[28:29], v[24:25]
	global_load_b64 v[24:25], v[24:25], off scope:SCOPE_SYS
	s_wait_xcnt 0x0
	s_wait_loadcnt 0x0
	global_atomic_cmpswap_b64 v[28:29], v5, v[24:27], s[2:3] offset:24 th:TH_ATOMIC_RETURN scope:SCOPE_SYS
	s_wait_loadcnt 0x0
	global_inv scope:SCOPE_SYS
	s_wait_xcnt 0x0
	v_cmpx_ne_u64_e64 v[28:29], v[26:27]
	s_cbranch_execz .LBB8_109
; %bb.106:                              ;   in Loop: Header=BB8_55 Depth=1
	s_mov_b32 s11, 0
.LBB8_107:                              ;   Parent Loop BB8_55 Depth=1
                                        ; =>  This Inner Loop Header: Depth=2
	s_sleep 1
	s_clause 0x1
	global_load_b64 v[24:25], v5, s[2:3] offset:40
	global_load_b64 v[30:31], v5, s[2:3]
	v_mov_b64_e32 v[26:27], v[28:29]
	s_wait_loadcnt 0x1
	s_delay_alu instid0(VALU_DEP_1) | instskip(SKIP_1) | instid1(VALU_DEP_1)
	v_and_b32_e32 v1, v24, v26
	s_wait_loadcnt 0x0
	v_mad_nc_u64_u32 v[28:29], v1, 24, v[30:31]
	s_delay_alu instid0(VALU_DEP_3) | instskip(NEXT) | instid1(VALU_DEP_1)
	v_and_b32_e32 v1, v25, v27
	v_mad_u32 v29, v1, 24, v29
	global_load_b64 v[24:25], v[28:29], off scope:SCOPE_SYS
	s_wait_xcnt 0x0
	s_wait_loadcnt 0x0
	global_atomic_cmpswap_b64 v[28:29], v5, v[24:27], s[2:3] offset:24 th:TH_ATOMIC_RETURN scope:SCOPE_SYS
	s_wait_loadcnt 0x0
	global_inv scope:SCOPE_SYS
	v_cmp_eq_u64_e32 vcc_lo, v[28:29], v[26:27]
	s_or_b32 s11, vcc_lo, s11
	s_wait_xcnt 0x0
	s_and_not1_b32 exec_lo, exec_lo, s11
	s_cbranch_execnz .LBB8_107
; %bb.108:                              ;   in Loop: Header=BB8_55 Depth=1
	s_or_b32 exec_lo, exec_lo, s11
.LBB8_109:                              ;   in Loop: Header=BB8_55 Depth=1
	s_delay_alu instid0(SALU_CYCLE_1)
	s_or_b32 exec_lo, exec_lo, s10
.LBB8_110:                              ;   in Loop: Header=BB8_55 Depth=1
	s_delay_alu instid0(SALU_CYCLE_1)
	s_or_b32 exec_lo, exec_lo, s1
	s_clause 0x1
	global_load_b64 v[30:31], v5, s[2:3] offset:40
	global_load_b128 v[24:27], v5, s[2:3]
	v_readfirstlane_b32 s10, v28
	v_readfirstlane_b32 s11, v29
	s_mov_b32 s1, exec_lo
	s_wait_loadcnt 0x1
	v_and_b32_e32 v30, s10, v30
	v_and_b32_e32 v31, s11, v31
	s_delay_alu instid0(VALU_DEP_1) | instskip(SKIP_1) | instid1(VALU_DEP_1)
	v_mul_u64_e32 v[28:29], 24, v[30:31]
	s_wait_loadcnt 0x0
	v_add_nc_u64_e32 v[28:29], v[24:25], v[28:29]
	s_wait_xcnt 0x0
	s_and_saveexec_b32 s12, s0
	s_cbranch_execz .LBB8_112
; %bb.111:                              ;   in Loop: Header=BB8_55 Depth=1
	v_mov_b32_e32 v4, s1
	global_store_b128 v[28:29], v[4:7], off offset:8
.LBB8_112:                              ;   in Loop: Header=BB8_55 Depth=1
	s_wait_xcnt 0x0
	s_or_b32 exec_lo, exec_lo, s12
	v_cmp_gt_u64_e64 s1, s[6:7], 56
	v_lshlrev_b64_e32 v[30:31], 12, v[30:31]
	v_and_b32_e32 v1, 0xffffff1f, v8
	s_and_b32 s1, s1, exec_lo
	s_delay_alu instid0(VALU_DEP_2) | instskip(SKIP_4) | instid1(VALU_DEP_2)
	v_add_nc_u64_e32 v[26:27], v[26:27], v[30:31]
	s_cselect_b32 s1, 0, 2
	s_lshl_b32 s12, s8, 2
	v_or_b32_e32 v1, s1, v1
	s_add_co_i32 s1, s12, 28
	v_readfirstlane_b32 s12, v26
	s_delay_alu instid0(VALU_DEP_3) | instskip(NEXT) | instid1(VALU_DEP_3)
	v_readfirstlane_b32 s13, v27
	v_and_or_b32 v8, 0x1e0, s1, v1
	s_clause 0x3
	global_store_b128 v0, v[8:11], s[12:13]
	global_store_b128 v0, v[12:15], s[12:13] offset:16
	global_store_b128 v0, v[16:19], s[12:13] offset:32
	;; [unrolled: 1-line block ×3, first 2 shown]
	s_wait_xcnt 0x0
	s_and_saveexec_b32 s1, s0
	s_cbranch_execz .LBB8_120
; %bb.113:                              ;   in Loop: Header=BB8_55 Depth=1
	s_clause 0x1
	global_load_b64 v[16:17], v5, s[2:3] offset:32 scope:SCOPE_SYS
	global_load_b64 v[8:9], v5, s[2:3] offset:40
	s_mov_b32 s12, exec_lo
	v_dual_mov_b32 v14, s10 :: v_dual_mov_b32 v15, s11
	s_wait_loadcnt 0x0
	v_and_b32_e32 v9, s11, v9
	v_and_b32_e32 v8, s10, v8
	s_delay_alu instid0(VALU_DEP_1) | instskip(NEXT) | instid1(VALU_DEP_1)
	v_mul_u64_e32 v[8:9], 24, v[8:9]
	v_add_nc_u64_e32 v[12:13], v[24:25], v[8:9]
	global_store_b64 v[12:13], v[16:17], off
	global_wb scope:SCOPE_SYS
	s_wait_storecnt 0x0
	s_wait_xcnt 0x0
	global_atomic_cmpswap_b64 v[10:11], v5, v[14:17], s[2:3] offset:32 th:TH_ATOMIC_RETURN scope:SCOPE_SYS
	s_wait_loadcnt 0x0
	v_cmpx_ne_u64_e64 v[10:11], v[16:17]
	s_cbranch_execz .LBB8_116
; %bb.114:                              ;   in Loop: Header=BB8_55 Depth=1
	s_mov_b32 s13, 0
.LBB8_115:                              ;   Parent Loop BB8_55 Depth=1
                                        ; =>  This Inner Loop Header: Depth=2
	v_dual_mov_b32 v8, s10 :: v_dual_mov_b32 v9, s11
	s_sleep 1
	global_store_b64 v[12:13], v[10:11], off
	global_wb scope:SCOPE_SYS
	s_wait_storecnt 0x0
	s_wait_xcnt 0x0
	global_atomic_cmpswap_b64 v[8:9], v5, v[8:11], s[2:3] offset:32 th:TH_ATOMIC_RETURN scope:SCOPE_SYS
	s_wait_loadcnt 0x0
	v_cmp_eq_u64_e32 vcc_lo, v[8:9], v[10:11]
	v_mov_b64_e32 v[10:11], v[8:9]
	s_or_b32 s13, vcc_lo, s13
	s_delay_alu instid0(SALU_CYCLE_1)
	s_and_not1_b32 exec_lo, exec_lo, s13
	s_cbranch_execnz .LBB8_115
.LBB8_116:                              ;   in Loop: Header=BB8_55 Depth=1
	s_or_b32 exec_lo, exec_lo, s12
	global_load_b64 v[8:9], v5, s[2:3] offset:16
	s_mov_b32 s13, exec_lo
	s_mov_b32 s12, exec_lo
	v_mbcnt_lo_u32_b32 v1, s13, 0
	s_wait_xcnt 0x0
	s_delay_alu instid0(VALU_DEP_1)
	v_cmpx_eq_u32_e32 0, v1
	s_cbranch_execz .LBB8_118
; %bb.117:                              ;   in Loop: Header=BB8_55 Depth=1
	s_bcnt1_i32_b32 s13, s13
	s_delay_alu instid0(SALU_CYCLE_1)
	v_mov_b32_e32 v4, s13
	global_wb scope:SCOPE_SYS
	s_wait_loadcnt 0x0
	s_wait_storecnt 0x0
	global_atomic_add_u64 v[8:9], v[4:5], off offset:8 scope:SCOPE_SYS
.LBB8_118:                              ;   in Loop: Header=BB8_55 Depth=1
	s_wait_xcnt 0x0
	s_or_b32 exec_lo, exec_lo, s12
	s_wait_loadcnt 0x0
	global_load_b64 v[10:11], v[8:9], off offset:16
	s_wait_loadcnt 0x0
	v_cmp_eq_u64_e32 vcc_lo, 0, v[10:11]
	s_cbranch_vccnz .LBB8_120
; %bb.119:                              ;   in Loop: Header=BB8_55 Depth=1
	global_load_b32 v4, v[8:9], off offset:24
	s_wait_loadcnt 0x0
	v_readfirstlane_b32 s12, v4
	global_wb scope:SCOPE_SYS
	s_wait_storecnt 0x0
	s_wait_xcnt 0x0
	global_store_b64 v[10:11], v[4:5], off scope:SCOPE_SYS
	s_and_b32 m0, s12, 0xffffff
	s_sendmsg sendmsg(MSG_INTERRUPT)
.LBB8_120:                              ;   in Loop: Header=BB8_55 Depth=1
	s_wait_xcnt 0x0
	s_or_b32 exec_lo, exec_lo, s1
	v_mov_b32_e32 v1, v5
	s_delay_alu instid0(VALU_DEP_1)
	v_add_nc_u64_e32 v[8:9], v[26:27], v[0:1]
	s_branch .LBB8_124
.LBB8_121:                              ;   in Loop: Header=BB8_124 Depth=2
	s_wait_xcnt 0x0
	s_or_b32 exec_lo, exec_lo, s1
	s_delay_alu instid0(VALU_DEP_1)
	v_readfirstlane_b32 s1, v1
	s_cmp_eq_u32 s1, 0
	s_cbranch_scc1 .LBB8_123
; %bb.122:                              ;   in Loop: Header=BB8_124 Depth=2
	s_sleep 1
	s_cbranch_execnz .LBB8_124
	s_branch .LBB8_126
.LBB8_123:                              ;   in Loop: Header=BB8_55 Depth=1
	s_branch .LBB8_126
.LBB8_124:                              ;   Parent Loop BB8_55 Depth=1
                                        ; =>  This Inner Loop Header: Depth=2
	v_mov_b32_e32 v1, 1
	s_and_saveexec_b32 s1, s0
	s_cbranch_execz .LBB8_121
; %bb.125:                              ;   in Loop: Header=BB8_124 Depth=2
	global_load_b32 v1, v[28:29], off offset:20 scope:SCOPE_SYS
	s_wait_loadcnt 0x0
	global_inv scope:SCOPE_SYS
	v_and_b32_e32 v1, 1, v1
	s_branch .LBB8_121
.LBB8_126:                              ;   in Loop: Header=BB8_55 Depth=1
	global_load_b128 v[8:11], v[8:9], off
	s_wait_xcnt 0x0
	s_and_saveexec_b32 s12, s0
	s_cbranch_execz .LBB8_54
; %bb.127:                              ;   in Loop: Header=BB8_55 Depth=1
	s_wait_loadcnt 0x0
	s_clause 0x2
	global_load_b64 v[10:11], v5, s[2:3] offset:40
	global_load_b64 v[18:19], v5, s[2:3] offset:24 scope:SCOPE_SYS
	global_load_b64 v[12:13], v5, s[2:3]
	s_wait_loadcnt 0x2
	v_readfirstlane_b32 s14, v10
	v_readfirstlane_b32 s15, v11
	s_add_nc_u64 s[0:1], s[14:15], 1
	s_delay_alu instid0(SALU_CYCLE_1) | instskip(NEXT) | instid1(SALU_CYCLE_1)
	s_add_nc_u64 s[10:11], s[0:1], s[10:11]
	s_cmp_eq_u64 s[10:11], 0
	s_cselect_b32 s1, s1, s11
	s_cselect_b32 s0, s0, s10
	s_delay_alu instid0(SALU_CYCLE_1) | instskip(SKIP_1) | instid1(SALU_CYCLE_1)
	v_dual_mov_b32 v17, s1 :: v_dual_mov_b32 v16, s0
	s_and_b64 s[10:11], s[0:1], s[14:15]
	s_mul_u64 s[10:11], s[10:11], 24
	s_wait_loadcnt 0x0
	v_add_nc_u64_e32 v[14:15], s[10:11], v[12:13]
	global_store_b64 v[14:15], v[18:19], off
	global_wb scope:SCOPE_SYS
	s_wait_storecnt 0x0
	s_wait_xcnt 0x0
	global_atomic_cmpswap_b64 v[12:13], v5, v[16:19], s[2:3] offset:24 th:TH_ATOMIC_RETURN scope:SCOPE_SYS
	s_wait_loadcnt 0x0
	v_cmp_ne_u64_e32 vcc_lo, v[12:13], v[18:19]
	s_and_b32 exec_lo, exec_lo, vcc_lo
	s_cbranch_execz .LBB8_54
; %bb.128:                              ;   in Loop: Header=BB8_55 Depth=1
	s_mov_b32 s10, 0
.LBB8_129:                              ;   Parent Loop BB8_55 Depth=1
                                        ; =>  This Inner Loop Header: Depth=2
	v_dual_mov_b32 v10, s0 :: v_dual_mov_b32 v11, s1
	s_sleep 1
	global_store_b64 v[14:15], v[12:13], off
	global_wb scope:SCOPE_SYS
	s_wait_storecnt 0x0
	s_wait_xcnt 0x0
	global_atomic_cmpswap_b64 v[10:11], v5, v[10:13], s[2:3] offset:24 th:TH_ATOMIC_RETURN scope:SCOPE_SYS
	s_wait_loadcnt 0x0
	v_cmp_eq_u64_e32 vcc_lo, v[10:11], v[12:13]
	v_mov_b64_e32 v[12:13], v[10:11]
	s_or_b32 s10, vcc_lo, s10
	s_delay_alu instid0(SALU_CYCLE_1)
	s_and_not1_b32 exec_lo, exec_lo, s10
	s_cbranch_execnz .LBB8_129
	s_branch .LBB8_54
.LBB8_130:
	s_mov_b32 s0, 0
	s_branch .LBB8_132
.LBB8_131:
	s_mov_b32 s0, -1
.LBB8_132:
	s_delay_alu instid0(SALU_CYCLE_1)
	s_and_b32 vcc_lo, exec_lo, s0
	s_cbranch_vccz .LBB8_160
; %bb.133:
	v_readfirstlane_b32 s0, v43
	s_wait_loadcnt 0x0
	v_mov_b64_e32 v[10:11], 0
	s_delay_alu instid0(VALU_DEP_2)
	v_cmp_eq_u32_e64 s0, s0, v43
	s_and_saveexec_b32 s1, s0
	s_cbranch_execz .LBB8_139
; %bb.134:
	v_mov_b32_e32 v1, 0
	s_mov_b32 s4, exec_lo
	global_load_b64 v[6:7], v1, s[2:3] offset:24 scope:SCOPE_SYS
	s_wait_loadcnt 0x0
	global_inv scope:SCOPE_SYS
	s_clause 0x1
	global_load_b64 v[4:5], v1, s[2:3] offset:40
	global_load_b64 v[8:9], v1, s[2:3]
	s_wait_loadcnt 0x1
	v_and_b32_e32 v4, v4, v6
	v_and_b32_e32 v5, v5, v7
	s_delay_alu instid0(VALU_DEP_1) | instskip(SKIP_1) | instid1(VALU_DEP_1)
	v_mul_u64_e32 v[4:5], 24, v[4:5]
	s_wait_loadcnt 0x0
	v_add_nc_u64_e32 v[4:5], v[8:9], v[4:5]
	global_load_b64 v[4:5], v[4:5], off scope:SCOPE_SYS
	s_wait_xcnt 0x0
	s_wait_loadcnt 0x0
	global_atomic_cmpswap_b64 v[10:11], v1, v[4:7], s[2:3] offset:24 th:TH_ATOMIC_RETURN scope:SCOPE_SYS
	s_wait_loadcnt 0x0
	global_inv scope:SCOPE_SYS
	s_wait_xcnt 0x0
	v_cmpx_ne_u64_e64 v[10:11], v[6:7]
	s_cbranch_execz .LBB8_138
; %bb.135:
	s_mov_b32 s5, 0
.LBB8_136:                              ; =>This Inner Loop Header: Depth=1
	s_sleep 1
	s_clause 0x1
	global_load_b64 v[4:5], v1, s[2:3] offset:40
	global_load_b64 v[8:9], v1, s[2:3]
	v_mov_b64_e32 v[6:7], v[10:11]
	s_wait_loadcnt 0x1
	s_delay_alu instid0(VALU_DEP_1) | instskip(SKIP_1) | instid1(VALU_DEP_1)
	v_and_b32_e32 v4, v4, v6
	s_wait_loadcnt 0x0
	v_mad_nc_u64_u32 v[8:9], v4, 24, v[8:9]
	s_delay_alu instid0(VALU_DEP_3) | instskip(NEXT) | instid1(VALU_DEP_1)
	v_and_b32_e32 v4, v5, v7
	v_mad_u32 v9, v4, 24, v9
	global_load_b64 v[4:5], v[8:9], off scope:SCOPE_SYS
	s_wait_xcnt 0x0
	s_wait_loadcnt 0x0
	global_atomic_cmpswap_b64 v[10:11], v1, v[4:7], s[2:3] offset:24 th:TH_ATOMIC_RETURN scope:SCOPE_SYS
	s_wait_loadcnt 0x0
	global_inv scope:SCOPE_SYS
	v_cmp_eq_u64_e32 vcc_lo, v[10:11], v[6:7]
	s_or_b32 s5, vcc_lo, s5
	s_wait_xcnt 0x0
	s_and_not1_b32 exec_lo, exec_lo, s5
	s_cbranch_execnz .LBB8_136
; %bb.137:
	s_or_b32 exec_lo, exec_lo, s5
.LBB8_138:
	s_delay_alu instid0(SALU_CYCLE_1)
	s_or_b32 exec_lo, exec_lo, s4
.LBB8_139:
	s_delay_alu instid0(SALU_CYCLE_1)
	s_or_b32 exec_lo, exec_lo, s1
	v_readfirstlane_b32 s4, v10
	v_mov_b32_e32 v4, 0
	v_readfirstlane_b32 s5, v11
	s_mov_b32 s1, exec_lo
	s_clause 0x1
	global_load_b64 v[12:13], v4, s[2:3] offset:40
	global_load_b128 v[6:9], v4, s[2:3]
	s_wait_loadcnt 0x1
	v_and_b32_e32 v12, s4, v12
	v_and_b32_e32 v13, s5, v13
	s_delay_alu instid0(VALU_DEP_1) | instskip(SKIP_1) | instid1(VALU_DEP_1)
	v_mul_u64_e32 v[10:11], 24, v[12:13]
	s_wait_loadcnt 0x0
	v_add_nc_u64_e32 v[10:11], v[6:7], v[10:11]
	s_wait_xcnt 0x0
	s_and_saveexec_b32 s6, s0
	s_cbranch_execz .LBB8_141
; %bb.140:
	v_mov_b64_e32 v[16:17], 0x100000002
	v_dual_mov_b32 v14, s1 :: v_dual_mov_b32 v15, v4
	global_store_b128 v[10:11], v[14:17], off offset:8
.LBB8_141:
	s_wait_xcnt 0x0
	s_or_b32 exec_lo, exec_lo, s6
	v_lshlrev_b64_e32 v[12:13], 12, v[12:13]
	s_mov_b32 s8, 0
	v_and_or_b32 v2, 0xffffff1d, v2, 34
	s_mov_b32 s10, s8
	s_mov_b32 s11, s8
	s_mov_b32 s9, s8
	v_mov_b32_e32 v5, v4
	v_add_nc_u64_e32 v[8:9], v[8:9], v[12:13]
	v_mov_b64_e32 v[14:15], s[10:11]
	v_mov_b64_e32 v[12:13], s[8:9]
	s_delay_alu instid0(VALU_DEP_3) | instskip(NEXT) | instid1(VALU_DEP_4)
	v_readfirstlane_b32 s6, v8
	v_readfirstlane_b32 s7, v9
	s_clause 0x3
	global_store_b128 v0, v[2:5], s[6:7]
	global_store_b128 v0, v[12:15], s[6:7] offset:16
	global_store_b128 v0, v[12:15], s[6:7] offset:32
	;; [unrolled: 1-line block ×3, first 2 shown]
	s_wait_xcnt 0x0
	s_and_saveexec_b32 s1, s0
	s_cbranch_execz .LBB8_149
; %bb.142:
	v_dual_mov_b32 v8, 0 :: v_dual_mov_b32 v13, s5
	s_mov_b32 s6, exec_lo
	s_clause 0x1
	global_load_b64 v[14:15], v8, s[2:3] offset:32 scope:SCOPE_SYS
	global_load_b64 v[0:1], v8, s[2:3] offset:40
	s_wait_loadcnt 0x0
	v_dual_mov_b32 v12, s4 :: v_dual_bitop2_b32 v1, s5, v1 bitop3:0x40
	v_and_b32_e32 v0, s4, v0
	s_delay_alu instid0(VALU_DEP_1) | instskip(NEXT) | instid1(VALU_DEP_1)
	v_mul_u64_e32 v[0:1], 24, v[0:1]
	v_add_nc_u64_e32 v[4:5], v[6:7], v[0:1]
	global_store_b64 v[4:5], v[14:15], off
	global_wb scope:SCOPE_SYS
	s_wait_storecnt 0x0
	s_wait_xcnt 0x0
	global_atomic_cmpswap_b64 v[2:3], v8, v[12:15], s[2:3] offset:32 th:TH_ATOMIC_RETURN scope:SCOPE_SYS
	s_wait_loadcnt 0x0
	v_cmpx_ne_u64_e64 v[2:3], v[14:15]
	s_cbranch_execz .LBB8_145
; %bb.143:
	s_mov_b32 s7, 0
.LBB8_144:                              ; =>This Inner Loop Header: Depth=1
	v_dual_mov_b32 v0, s4 :: v_dual_mov_b32 v1, s5
	s_sleep 1
	global_store_b64 v[4:5], v[2:3], off
	global_wb scope:SCOPE_SYS
	s_wait_storecnt 0x0
	s_wait_xcnt 0x0
	global_atomic_cmpswap_b64 v[0:1], v8, v[0:3], s[2:3] offset:32 th:TH_ATOMIC_RETURN scope:SCOPE_SYS
	s_wait_loadcnt 0x0
	v_cmp_eq_u64_e32 vcc_lo, v[0:1], v[2:3]
	v_mov_b64_e32 v[2:3], v[0:1]
	s_or_b32 s7, vcc_lo, s7
	s_delay_alu instid0(SALU_CYCLE_1)
	s_and_not1_b32 exec_lo, exec_lo, s7
	s_cbranch_execnz .LBB8_144
.LBB8_145:
	s_or_b32 exec_lo, exec_lo, s6
	v_mov_b32_e32 v3, 0
	s_mov_b32 s7, exec_lo
	s_mov_b32 s6, exec_lo
	v_mbcnt_lo_u32_b32 v2, s7, 0
	global_load_b64 v[0:1], v3, s[2:3] offset:16
	s_wait_xcnt 0x0
	v_cmpx_eq_u32_e32 0, v2
	s_cbranch_execz .LBB8_147
; %bb.146:
	s_bcnt1_i32_b32 s7, s7
	s_delay_alu instid0(SALU_CYCLE_1)
	v_mov_b32_e32 v2, s7
	global_wb scope:SCOPE_SYS
	s_wait_loadcnt 0x0
	s_wait_storecnt 0x0
	global_atomic_add_u64 v[0:1], v[2:3], off offset:8 scope:SCOPE_SYS
.LBB8_147:
	s_wait_xcnt 0x0
	s_or_b32 exec_lo, exec_lo, s6
	s_wait_loadcnt 0x0
	global_load_b64 v[2:3], v[0:1], off offset:16
	s_wait_loadcnt 0x0
	v_cmp_eq_u64_e32 vcc_lo, 0, v[2:3]
	s_cbranch_vccnz .LBB8_149
; %bb.148:
	global_load_b32 v0, v[0:1], off offset:24
	s_wait_xcnt 0x0
	v_mov_b32_e32 v1, 0
	s_wait_loadcnt 0x0
	v_readfirstlane_b32 s6, v0
	global_wb scope:SCOPE_SYS
	s_wait_storecnt 0x0
	global_store_b64 v[2:3], v[0:1], off scope:SCOPE_SYS
	s_and_b32 m0, s6, 0xffffff
	s_sendmsg sendmsg(MSG_INTERRUPT)
.LBB8_149:
	s_wait_xcnt 0x0
	s_or_b32 exec_lo, exec_lo, s1
	s_branch .LBB8_153
.LBB8_150:                              ;   in Loop: Header=BB8_153 Depth=1
	s_wait_xcnt 0x0
	s_or_b32 exec_lo, exec_lo, s1
	s_delay_alu instid0(VALU_DEP_1)
	v_readfirstlane_b32 s1, v0
	s_cmp_eq_u32 s1, 0
	s_cbranch_scc1 .LBB8_152
; %bb.151:                              ;   in Loop: Header=BB8_153 Depth=1
	s_sleep 1
	s_cbranch_execnz .LBB8_153
	s_branch .LBB8_155
.LBB8_152:
	s_branch .LBB8_155
.LBB8_153:                              ; =>This Inner Loop Header: Depth=1
	v_mov_b32_e32 v0, 1
	s_and_saveexec_b32 s1, s0
	s_cbranch_execz .LBB8_150
; %bb.154:                              ;   in Loop: Header=BB8_153 Depth=1
	global_load_b32 v0, v[10:11], off offset:20 scope:SCOPE_SYS
	s_wait_loadcnt 0x0
	global_inv scope:SCOPE_SYS
	v_and_b32_e32 v0, 1, v0
	s_branch .LBB8_150
.LBB8_155:
	s_and_saveexec_b32 s6, s0
	s_cbranch_execz .LBB8_159
; %bb.156:
	v_mov_b32_e32 v6, 0
	s_clause 0x2
	global_load_b64 v[0:1], v6, s[2:3] offset:40
	global_load_b64 v[10:11], v6, s[2:3] offset:24 scope:SCOPE_SYS
	global_load_b64 v[2:3], v6, s[2:3]
	s_wait_loadcnt 0x2
	v_readfirstlane_b32 s8, v0
	v_readfirstlane_b32 s9, v1
	s_add_nc_u64 s[0:1], s[8:9], 1
	s_delay_alu instid0(SALU_CYCLE_1) | instskip(NEXT) | instid1(SALU_CYCLE_1)
	s_add_nc_u64 s[4:5], s[0:1], s[4:5]
	s_cmp_eq_u64 s[4:5], 0
	s_cselect_b32 s1, s1, s5
	s_cselect_b32 s0, s0, s4
	v_mov_b32_e32 v9, s1
	s_and_b64 s[4:5], s[0:1], s[8:9]
	v_mov_b32_e32 v8, s0
	s_mul_u64 s[4:5], s[4:5], 24
	s_wait_loadcnt 0x0
	v_add_nc_u64_e32 v[4:5], s[4:5], v[2:3]
	global_store_b64 v[4:5], v[10:11], off
	global_wb scope:SCOPE_SYS
	s_wait_storecnt 0x0
	s_wait_xcnt 0x0
	global_atomic_cmpswap_b64 v[2:3], v6, v[8:11], s[2:3] offset:24 th:TH_ATOMIC_RETURN scope:SCOPE_SYS
	s_wait_loadcnt 0x0
	v_cmp_ne_u64_e32 vcc_lo, v[2:3], v[10:11]
	s_and_b32 exec_lo, exec_lo, vcc_lo
	s_cbranch_execz .LBB8_159
; %bb.157:
	s_mov_b32 s4, 0
.LBB8_158:                              ; =>This Inner Loop Header: Depth=1
	v_dual_mov_b32 v0, s0 :: v_dual_mov_b32 v1, s1
	s_sleep 1
	global_store_b64 v[4:5], v[2:3], off
	global_wb scope:SCOPE_SYS
	s_wait_storecnt 0x0
	s_wait_xcnt 0x0
	global_atomic_cmpswap_b64 v[0:1], v6, v[0:3], s[2:3] offset:24 th:TH_ATOMIC_RETURN scope:SCOPE_SYS
	s_wait_loadcnt 0x0
	v_cmp_eq_u64_e32 vcc_lo, v[0:1], v[2:3]
	v_mov_b64_e32 v[2:3], v[0:1]
	s_or_b32 s4, vcc_lo, s4
	s_delay_alu instid0(SALU_CYCLE_1)
	s_and_not1_b32 exec_lo, exec_lo, s4
	s_cbranch_execnz .LBB8_158
.LBB8_159:
	s_or_b32 exec_lo, exec_lo, s6
.LBB8_160:
	s_get_pc_i64 s[0:1]
	s_add_nc_u64 s[0:1], s[0:1], .str.29@rel64+4
	s_get_pc_i64 s[2:3]
	s_add_nc_u64 s[2:3], s[2:3], .str.19@rel64+4
	s_get_pc_i64 s[4:5]
	s_add_nc_u64 s[4:5], s[4:5], __PRETTY_FUNCTION__._ZN7VecsMemIjLi8192EE5fetchEi@rel64+4
	v_dual_mov_b32 v0, s0 :: v_dual_mov_b32 v1, s1
	s_wait_loadcnt 0x0
	v_dual_mov_b32 v2, s2 :: v_dual_mov_b32 v3, s3
	v_dual_mov_b32 v4, 12 :: v_dual_mov_b32 v5, s4
	v_mov_b32_e32 v6, s5
	s_mov_b64 s[8:9], s[82:83]
	s_swap_pc_i64 s[30:31], s[86:87]
	s_or_b32 s0, s80, exec_lo
.LBB8_161:
	s_or_b32 exec_lo, exec_lo, s22
	s_delay_alu instid0(SALU_CYCLE_1) | instskip(SKIP_1) | instid1(SALU_CYCLE_1)
	s_and_not1_b32 s1, s80, exec_lo
	s_and_b32 s0, s0, exec_lo
	s_or_b32 s22, s1, s0
	s_or_not1_b32 s0, s21, exec_lo
.LBB8_162:
	s_or_b32 exec_lo, exec_lo, s20
	s_and_saveexec_b32 s20, s0
	s_cbranch_execz .LBB8_175
; %bb.163:
	s_mov_b32 s21, 0
	s_mov_b32 s23, s22
	s_mov_b32 s0, exec_lo
	v_cmpx_ne_u32_e32 -1, v45
	s_xor_b32 s19, exec_lo, s0
	s_cbranch_execz .LBB8_172
; %bb.164:
	s_mov_b32 s1, 0
	s_mov_b32 s0, exec_lo
	v_cmpx_lt_i32_e32 0, v44
	s_cbranch_execz .LBB8_169
; %bb.165:
	scratch_load_b64 v[0:1], off, off offset:8
	v_dual_mov_b32 v2, v44 :: v_dual_mov_b32 v3, v45
.LBB8_166:                              ; =>This Inner Loop Header: Depth=1
	s_wait_loadcnt 0x0
	flat_load_b32 v4, v[0:1]
	v_add_nc_u32_e32 v2, -1, v2
	s_wait_xcnt 0x0
	v_add_nc_u64_e32 v[0:1], 4, v[0:1]
	s_wait_loadcnt_dscnt 0x0
	scratch_store_b32 v3, v4, off
	s_wait_xcnt 0x0
	v_add_nc_u32_e32 v3, 4, v3
	v_cmp_eq_u32_e32 vcc_lo, 0, v2
	s_or_b32 s1, vcc_lo, s1
	s_delay_alu instid0(SALU_CYCLE_1)
	s_and_not1_b32 exec_lo, exec_lo, s1
	s_cbranch_execnz .LBB8_166
; %bb.167:
	s_or_b32 exec_lo, exec_lo, s1
	v_mov_b32_e32 v0, v44
	s_mov_b32 s1, 20
	s_mov_b32 s2, 0
.LBB8_168:                              ; =>This Inner Loop Header: Depth=1
	scratch_load_b32 v1, v45, off
	s_wait_xcnt 0x0
	v_dual_add_nc_u32 v0, -1, v0 :: v_dual_add_nc_u32 v45, 4, v45
	s_delay_alu instid0(VALU_DEP_1)
	v_cmp_eq_u32_e32 vcc_lo, 0, v0
	s_wait_loadcnt 0x0
	scratch_store_b32 off, v1, s1
	s_wait_xcnt 0x0
	s_add_co_i32 s1, s1, 4
	s_or_b32 s2, vcc_lo, s2
	s_delay_alu instid0(SALU_CYCLE_1)
	s_and_not1_b32 exec_lo, exec_lo, s2
	s_cbranch_execnz .LBB8_168
.LBB8_169:
	s_or_b32 exec_lo, exec_lo, s0
	scratch_load_b32 v0, off, off offset:16
	s_mov_b32 s0, -1
	s_mov_b32 s1, s22
	s_mov_b32 s2, exec_lo
	s_wait_loadcnt 0x0
	v_cmpx_lt_i32_e64 v0, v44
	s_xor_b32 s21, exec_lo, s2
	s_cbranch_execz .LBB8_171
; %bb.170:
	s_get_pc_i64 s[0:1]
	s_add_nc_u64 s[0:1], s[0:1], .str.18@rel64+4
	s_get_pc_i64 s[2:3]
	s_add_nc_u64 s[2:3], s[2:3], .str.19@rel64+4
	s_get_pc_i64 s[4:5]
	s_add_nc_u64 s[4:5], s[4:5], __PRETTY_FUNCTION__._ZN7VecsMemIjLi8192EE6shrinkEi@rel64+4
	v_dual_mov_b32 v0, s0 :: v_dual_mov_b32 v1, s1
	v_dual_mov_b32 v2, s2 :: v_dual_mov_b32 v3, s3
	;; [unrolled: 1-line block ×3, first 2 shown]
	v_mov_b32_e32 v6, s5
	s_mov_b64 s[8:9], s[82:83]
	s_swap_pc_i64 s[30:31], s[86:87]
	s_or_b32 s1, s22, exec_lo
	s_xor_b32 s0, exec_lo, -1
.LBB8_171:
	s_or_b32 exec_lo, exec_lo, s21
	s_delay_alu instid0(SALU_CYCLE_1)
	s_and_not1_b32 s2, s22, exec_lo
	s_and_b32 s1, s1, exec_lo
	s_and_b32 s21, s0, exec_lo
	s_or_b32 s23, s2, s1
.LBB8_172:
	s_and_not1_saveexec_b32 s19, s19
	s_cbranch_execz .LBB8_174
; %bb.173:
	s_get_pc_i64 s[0:1]
	s_add_nc_u64 s[0:1], s[0:1], .str.17@rel64+4
	s_get_pc_i64 s[2:3]
	s_add_nc_u64 s[2:3], s[2:3], .str.16@rel64+4
	s_get_pc_i64 s[4:5]
	s_add_nc_u64 s[4:5], s[4:5], __PRETTY_FUNCTION__._ZN3sop10minatoIsopEPKjiP7VecsMemIjLi8192EE@rel64+4
	v_dual_mov_b32 v0, s0 :: v_dual_mov_b32 v1, s1
	v_dual_mov_b32 v2, s2 :: v_dual_mov_b32 v3, s3
	;; [unrolled: 1-line block ×3, first 2 shown]
	v_mov_b32_e32 v6, s5
	s_mov_b64 s[8:9], s[82:83]
	s_swap_pc_i64 s[30:31], s[86:87]
	s_or_b32 s23, s23, exec_lo
.LBB8_174:
	s_or_b32 exec_lo, exec_lo, s19
	s_delay_alu instid0(SALU_CYCLE_1)
	s_and_not1_b32 s0, s22, exec_lo
	s_and_b32 s1, s23, exec_lo
	s_and_b32 s19, s21, exec_lo
	s_or_b32 s22, s0, s1
.LBB8_175:
	s_or_b32 exec_lo, exec_lo, s20
	s_delay_alu instid0(SALU_CYCLE_1)
	s_and_not1_b32 s0, s80, exec_lo
	s_and_b32 s1, s22, exec_lo
	s_and_not1_b32 s17, s17, exec_lo
	s_or_b32 s34, s0, s1
	s_and_b32 s0, s19, exec_lo
.LBB8_176:
	s_or_b32 exec_lo, exec_lo, s18
	s_and_saveexec_b32 s1, s17
	s_cbranch_execz .LBB8_178
; %bb.177:
	scratch_load_b32 v0, off, off offset:16
	s_and_not1_b32 s0, s0, exec_lo
	s_mov_b32 s104, exec_lo
	s_wait_loadcnt 0x0
	v_cmp_ge_i32_e32 vcc_lo, v0, v44
	v_mov_b32_e32 v0, 0
	s_and_b32 s2, vcc_lo, exec_lo
	scratch_store_b32 off, v0, off offset:20
	s_or_b32 s0, s0, s2
.LBB8_178:
	s_wait_xcnt 0x0
	s_or_b32 exec_lo, exec_lo, s1
	s_mov_b32 s1, 0
	s_mov_b32 s2, 0
	;; [unrolled: 1-line block ×3, first 2 shown]
	s_and_saveexec_b32 s81, s0
	s_cbranch_execz .LBB8_403
; %bb.179:
	s_mov_b32 s24, s34
	scratch_store_b32 off, v44, off offset:16
	s_wait_storecnt 0x0
	s_barrier_signal -1
	s_barrier_wait -1
	s_mov_b32 s0, exec_lo
	s_wait_xcnt 0x0
	v_cmpx_lt_i32_e32 15, v41
	s_xor_b32 s17, exec_lo, s0
	s_cbranch_execz .LBB8_181
; %bb.180:
	s_get_pc_i64 s[0:1]
	s_add_nc_u64 s[0:1], s[0:1], .str.30@rel64+4
	s_get_pc_i64 s[2:3]
	s_add_nc_u64 s[2:3], s[2:3], .str.31@rel64+4
	s_get_pc_i64 s[4:5]
	s_add_nc_u64 s[4:5], s[4:5], __PRETTY_FUNCTION__._ZN3sop9sopFactorEPjiiPKiiP7VecsMemIjLi8192EEPN8subgUtil4SubgILi256EEE@rel64+4
	v_dual_mov_b32 v0, s0 :: v_dual_mov_b32 v1, s1
	v_dual_mov_b32 v2, s2 :: v_dual_mov_b32 v3, s3
	;; [unrolled: 1-line block ×3, first 2 shown]
	v_mov_b32_e32 v6, s5
	s_mov_b64 s[8:9], s[82:83]
	s_swap_pc_i64 s[30:31], s[86:87]
	s_or_b32 s24, s34, exec_lo
                                        ; implicit-def: $vgpr92
                                        ; implicit-def: $vgpr41
                                        ; implicit-def: $vgpr95
                                        ; implicit-def: $vgpr104_vgpr105
                                        ; implicit-def: $vgpr78
                                        ; implicit-def: $vgpr42
                                        ; implicit-def: $vgpr43
.LBB8_181:
	s_or_saveexec_b32 s102, s17
	s_mov_b32 s0, 0
	s_mov_b32 s1, 0
	;; [unrolled: 1-line block ×3, first 2 shown]
	s_xor_b32 exec_lo, exec_lo, s102
	s_cbranch_execz .LBB8_402
; %bb.182:
	scratch_load_b32 v44, off, off offset:16
	s_mov_b32 s29, 0
	s_mov_b32 s101, 0
	s_mov_b32 s1, exec_lo
	scratch_store_b32 off, v41, off offset:32792
	s_wait_loadcnt 0x0
	v_cmpx_lt_i32_e32 0, v44
	s_xor_b32 s1, exec_lo, s1
	s_cbranch_execnz .LBB8_186
; %bb.183:
	s_and_not1_saveexec_b32 s1, s1
	s_cbranch_execnz .LBB8_195
.LBB8_184:
	s_or_b32 exec_lo, exec_lo, s1
	s_mov_b32 s17, s24
	s_and_saveexec_b32 s38, s0
	s_cbranch_execnz .LBB8_196
.LBB8_185:
	s_or_b32 exec_lo, exec_lo, s38
	s_and_saveexec_b32 s0, s29
	s_cbranch_execnz .LBB8_368
	s_branch .LBB8_373
.LBB8_186:
	s_mov_b32 s0, -1
	s_mov_b32 s3, 0
	s_mov_b32 s2, exec_lo
	v_cmpx_eq_u32_e32 1, v44
	s_cbranch_execz .LBB8_194
; %bb.187:
	scratch_load_b32 v0, off, off offset:20
	s_wait_loadcnt 0x0
	v_cmp_eq_u32_e64 s0, 0, v0
	v_cmp_ne_u32_e32 vcc_lo, 0, v0
	s_wait_xcnt 0x0
	s_and_saveexec_b32 s4, s0
	s_delay_alu instid0(SALU_CYCLE_1)
	s_xor_b32 s0, exec_lo, s4
	s_cbranch_execz .LBB8_193
; %bb.188:
	v_add_nc_u32_e32 v1, 1, v41
	v_lshl_add_u32 v0, v41, 3, 0x8018
	scratch_store_b32 off, v1, off offset:32792
	s_wait_xcnt 0x0
	s_and_saveexec_b32 s3, s100
	s_delay_alu instid0(SALU_CYCLE_1)
	s_xor_b32 s3, exec_lo, s3
	s_cbranch_execz .LBB8_190
; %bb.189:
	v_mov_b64_e32 v[2:3], 0
	scratch_store_b64 v0, v[2:3], off offset:8
                                        ; implicit-def: $vgpr0
.LBB8_190:
	s_wait_xcnt 0x0
	s_and_not1_saveexec_b32 s3, s3
	s_cbranch_execz .LBB8_192
; %bb.191:
	v_mov_b64_e32 v[2:3], 0x100000003
	scratch_store_b64 v0, v[2:3], off offset:8
.LBB8_192:
	s_wait_xcnt 0x0
	s_or_b32 exec_lo, exec_lo, s3
	s_delay_alu instid0(SALU_CYCLE_1)
	s_mov_b32 s3, exec_lo
.LBB8_193:
	s_or_b32 exec_lo, exec_lo, s0
	s_delay_alu instid0(SALU_CYCLE_1)
	s_and_b32 s3, s3, exec_lo
	s_or_not1_b32 s0, vcc_lo, exec_lo
.LBB8_194:
	s_or_b32 exec_lo, exec_lo, s2
	s_delay_alu instid0(SALU_CYCLE_1)
	s_and_b32 s101, s3, exec_lo
	s_and_b32 s0, s0, exec_lo
	s_and_not1_saveexec_b32 s1, s1
	s_cbranch_execz .LBB8_184
.LBB8_195:
	v_cmp_ne_u32_e32 vcc_lo, 0, v44
	s_and_not1_b32 s0, s0, exec_lo
	s_mov_b32 s29, exec_lo
	s_and_b32 s2, vcc_lo, exec_lo
	s_delay_alu instid0(SALU_CYCLE_1)
	s_or_b32 s0, s0, s2
	s_or_b32 exec_lo, exec_lo, s1
	s_mov_b32 s17, s24
	s_and_saveexec_b32 s38, s0
	s_cbranch_execz .LBB8_185
.LBB8_196:
	v_dual_mov_b32 v0, 0 :: v_dual_mov_b32 v94, -1
	s_mov_b32 s0, -1
	s_mov_b32 s103, s24
	s_mov_b32 s17, exec_lo
	scratch_store_b32 off, v0, off offset:4
	s_wait_xcnt 0x0
	v_cmpx_lt_i32_e32 0, v44
	s_cbranch_execz .LBB8_343
; %bb.197:
	v_mov_b32_e32 v94, -1
	s_mov_b32 s18, 0
	s_mov_b32 s0, exec_lo
	v_cmpx_gt_u32_e32 0x1001, v44
	s_xor_b32 s0, exec_lo, s0
	s_cbranch_execz .LBB8_199
; %bb.198:
	v_lshl_add_u32 v0, v44, 3, 16
	v_lshlrev_b32_e32 v1, 2, v44
	s_mov_b32 s18, exec_lo
                                        ; implicit-def: $vgpr43
	s_delay_alu instid0(VALU_DEP_1) | instskip(NEXT) | instid1(VALU_DEP_1)
	v_dual_sub_nc_u32 v0, v0, v1 :: v_dual_lshlrev_b32 v1, 1, v44
	v_add_nc_u32_e32 v94, 4, v0
	scratch_store_b32 off, v1, off offset:16
.LBB8_199:
	s_wait_xcnt 0x0
	s_or_saveexec_b32 s19, s0
	s_mov_b32 s0, s24
	s_xor_b32 exec_lo, exec_lo, s19
	s_cbranch_execz .LBB8_342
; %bb.200:
	s_load_b64 s[2:3], s[82:83], 0x50
	v_readfirstlane_b32 s0, v43
	v_mov_b64_e32 v[2:3], 0
	s_delay_alu instid0(VALU_DEP_2)
	v_cmp_eq_u32_e64 s0, s0, v43
	s_and_saveexec_b32 s1, s0
	s_cbranch_execz .LBB8_206
; %bb.201:
	v_mov_b32_e32 v0, 0
	s_mov_b32 s4, exec_lo
	s_wait_kmcnt 0x0
	global_load_b64 v[4:5], v0, s[2:3] offset:24 scope:SCOPE_SYS
	s_wait_loadcnt 0x0
	global_inv scope:SCOPE_SYS
	s_clause 0x1
	global_load_b64 v[2:3], v0, s[2:3] offset:40
	global_load_b64 v[6:7], v0, s[2:3]
	s_wait_loadcnt 0x1
	v_and_b32_e32 v2, v2, v4
	v_and_b32_e32 v3, v3, v5
	s_delay_alu instid0(VALU_DEP_1) | instskip(SKIP_1) | instid1(VALU_DEP_1)
	v_mul_u64_e32 v[2:3], 24, v[2:3]
	s_wait_loadcnt 0x0
	v_add_nc_u64_e32 v[2:3], v[6:7], v[2:3]
	global_load_b64 v[2:3], v[2:3], off scope:SCOPE_SYS
	s_wait_xcnt 0x0
	s_wait_loadcnt 0x0
	global_atomic_cmpswap_b64 v[2:3], v0, v[2:5], s[2:3] offset:24 th:TH_ATOMIC_RETURN scope:SCOPE_SYS
	s_wait_loadcnt 0x0
	global_inv scope:SCOPE_SYS
	s_wait_xcnt 0x0
	v_cmpx_ne_u64_e64 v[2:3], v[4:5]
	s_cbranch_execz .LBB8_205
; %bb.202:
	s_mov_b32 s5, 0
.LBB8_203:                              ; =>This Inner Loop Header: Depth=1
	s_sleep 1
	s_clause 0x1
	global_load_b64 v[6:7], v0, s[2:3] offset:40
	global_load_b64 v[8:9], v0, s[2:3]
	v_mov_b64_e32 v[4:5], v[2:3]
	s_wait_loadcnt 0x1
	s_delay_alu instid0(VALU_DEP_1) | instskip(SKIP_1) | instid1(VALU_DEP_1)
	v_and_b32_e32 v1, v6, v4
	s_wait_loadcnt 0x0
	v_mad_nc_u64_u32 v[2:3], v1, 24, v[8:9]
	s_delay_alu instid0(VALU_DEP_3) | instskip(NEXT) | instid1(VALU_DEP_1)
	v_and_b32_e32 v1, v7, v5
	v_mad_u32 v3, v1, 24, v3
	global_load_b64 v[2:3], v[2:3], off scope:SCOPE_SYS
	s_wait_xcnt 0x0
	s_wait_loadcnt 0x0
	global_atomic_cmpswap_b64 v[2:3], v0, v[2:5], s[2:3] offset:24 th:TH_ATOMIC_RETURN scope:SCOPE_SYS
	s_wait_loadcnt 0x0
	global_inv scope:SCOPE_SYS
	v_cmp_eq_u64_e32 vcc_lo, v[2:3], v[4:5]
	s_or_b32 s5, vcc_lo, s5
	s_wait_xcnt 0x0
	s_and_not1_b32 exec_lo, exec_lo, s5
	s_cbranch_execnz .LBB8_203
; %bb.204:
	s_or_b32 exec_lo, exec_lo, s5
.LBB8_205:
	s_delay_alu instid0(SALU_CYCLE_1)
	s_or_b32 exec_lo, exec_lo, s4
.LBB8_206:
	s_delay_alu instid0(SALU_CYCLE_1)
	s_or_b32 exec_lo, exec_lo, s1
	v_readfirstlane_b32 s4, v2
	v_mov_b32_e32 v1, 0
	v_readfirstlane_b32 s5, v3
	s_mov_b32 s1, exec_lo
	s_wait_kmcnt 0x0
	s_clause 0x1
	global_load_b64 v[8:9], v1, s[2:3] offset:40
	global_load_b128 v[4:7], v1, s[2:3]
	s_wait_loadcnt 0x1
	v_and_b32_e32 v10, s4, v8
	v_and_b32_e32 v11, s5, v9
	s_delay_alu instid0(VALU_DEP_1) | instskip(SKIP_1) | instid1(VALU_DEP_1)
	v_mul_u64_e32 v[2:3], 24, v[10:11]
	s_wait_loadcnt 0x0
	v_add_nc_u64_e32 v[8:9], v[4:5], v[2:3]
	s_wait_xcnt 0x0
	s_and_saveexec_b32 s6, s0
	s_cbranch_execz .LBB8_208
; %bb.207:
	v_mov_b64_e32 v[2:3], 0x100000002
	v_mov_b32_e32 v0, s1
	global_store_b128 v[8:9], v[0:3], off offset:8
.LBB8_208:
	s_wait_xcnt 0x0
	s_or_b32 exec_lo, exec_lo, s6
	v_lshlrev_b64_e32 v[2:3], 12, v[10:11]
	s_mov_b32 s8, 0
	v_dual_lshlrev_b32 v0, 6, v43 :: v_dual_mov_b32 v10, 33
	s_mov_b32 s10, s8
	s_mov_b32 s11, s8
	;; [unrolled: 1-line block ×3, first 2 shown]
	s_delay_alu instid0(VALU_DEP_2)
	v_add_nc_u64_e32 v[6:7], v[6:7], v[2:3]
	v_mov_b64_e32 v[16:17], s[10:11]
	v_mov_b64_e32 v[14:15], s[8:9]
	v_dual_mov_b32 v11, v1 :: v_dual_mov_b32 v12, v1
	v_mov_b32_e32 v13, v1
	v_readfirstlane_b32 s6, v6
	v_readfirstlane_b32 s7, v7
	s_clause 0x3
	global_store_b128 v0, v[10:13], s[6:7]
	global_store_b128 v0, v[14:17], s[6:7] offset:16
	global_store_b128 v0, v[14:17], s[6:7] offset:32
	global_store_b128 v0, v[14:17], s[6:7] offset:48
	s_wait_xcnt 0x0
	s_and_saveexec_b32 s1, s0
	s_cbranch_execz .LBB8_216
; %bb.209:
	v_dual_mov_b32 v12, 0 :: v_dual_mov_b32 v15, s5
	s_mov_b32 s6, exec_lo
	s_clause 0x1
	global_load_b64 v[16:17], v12, s[2:3] offset:32 scope:SCOPE_SYS
	global_load_b64 v[2:3], v12, s[2:3] offset:40
	s_wait_loadcnt 0x0
	v_dual_mov_b32 v14, s4 :: v_dual_bitop2_b32 v3, s5, v3 bitop3:0x40
	v_and_b32_e32 v2, s4, v2
	s_delay_alu instid0(VALU_DEP_1) | instskip(NEXT) | instid1(VALU_DEP_1)
	v_mul_u64_e32 v[2:3], 24, v[2:3]
	v_add_nc_u64_e32 v[10:11], v[4:5], v[2:3]
	global_store_b64 v[10:11], v[16:17], off
	global_wb scope:SCOPE_SYS
	s_wait_storecnt 0x0
	s_wait_xcnt 0x0
	global_atomic_cmpswap_b64 v[4:5], v12, v[14:17], s[2:3] offset:32 th:TH_ATOMIC_RETURN scope:SCOPE_SYS
	s_wait_loadcnt 0x0
	v_cmpx_ne_u64_e64 v[4:5], v[16:17]
	s_cbranch_execz .LBB8_212
; %bb.210:
	s_mov_b32 s7, 0
.LBB8_211:                              ; =>This Inner Loop Header: Depth=1
	v_dual_mov_b32 v2, s4 :: v_dual_mov_b32 v3, s5
	s_sleep 1
	global_store_b64 v[10:11], v[4:5], off
	global_wb scope:SCOPE_SYS
	s_wait_storecnt 0x0
	s_wait_xcnt 0x0
	global_atomic_cmpswap_b64 v[2:3], v12, v[2:5], s[2:3] offset:32 th:TH_ATOMIC_RETURN scope:SCOPE_SYS
	s_wait_loadcnt 0x0
	v_cmp_eq_u64_e32 vcc_lo, v[2:3], v[4:5]
	v_mov_b64_e32 v[4:5], v[2:3]
	s_or_b32 s7, vcc_lo, s7
	s_delay_alu instid0(SALU_CYCLE_1)
	s_and_not1_b32 exec_lo, exec_lo, s7
	s_cbranch_execnz .LBB8_211
.LBB8_212:
	s_or_b32 exec_lo, exec_lo, s6
	v_mov_b32_e32 v5, 0
	s_mov_b32 s7, exec_lo
	s_mov_b32 s6, exec_lo
	v_mbcnt_lo_u32_b32 v4, s7, 0
	global_load_b64 v[2:3], v5, s[2:3] offset:16
	s_wait_xcnt 0x0
	v_cmpx_eq_u32_e32 0, v4
	s_cbranch_execz .LBB8_214
; %bb.213:
	s_bcnt1_i32_b32 s7, s7
	s_delay_alu instid0(SALU_CYCLE_1)
	v_mov_b32_e32 v4, s7
	global_wb scope:SCOPE_SYS
	s_wait_loadcnt 0x0
	s_wait_storecnt 0x0
	global_atomic_add_u64 v[2:3], v[4:5], off offset:8 scope:SCOPE_SYS
.LBB8_214:
	s_wait_xcnt 0x0
	s_or_b32 exec_lo, exec_lo, s6
	s_wait_loadcnt 0x0
	global_load_b64 v[4:5], v[2:3], off offset:16
	s_wait_loadcnt 0x0
	v_cmp_eq_u64_e32 vcc_lo, 0, v[4:5]
	s_cbranch_vccnz .LBB8_216
; %bb.215:
	global_load_b32 v2, v[2:3], off offset:24
	s_wait_xcnt 0x0
	v_mov_b32_e32 v3, 0
	s_wait_loadcnt 0x0
	v_readfirstlane_b32 s6, v2
	global_wb scope:SCOPE_SYS
	s_wait_storecnt 0x0
	global_store_b64 v[4:5], v[2:3], off scope:SCOPE_SYS
	s_and_b32 m0, s6, 0xffffff
	s_sendmsg sendmsg(MSG_INTERRUPT)
.LBB8_216:
	s_wait_xcnt 0x0
	s_or_b32 exec_lo, exec_lo, s1
	v_add_nc_u64_e32 v[2:3], v[6:7], v[0:1]
	s_branch .LBB8_220
.LBB8_217:                              ;   in Loop: Header=BB8_220 Depth=1
	s_wait_xcnt 0x0
	s_or_b32 exec_lo, exec_lo, s1
	s_delay_alu instid0(VALU_DEP_1)
	v_readfirstlane_b32 s1, v1
	s_cmp_eq_u32 s1, 0
	s_cbranch_scc1 .LBB8_219
; %bb.218:                              ;   in Loop: Header=BB8_220 Depth=1
	s_sleep 1
	s_cbranch_execnz .LBB8_220
	s_branch .LBB8_222
.LBB8_219:
	s_branch .LBB8_222
.LBB8_220:                              ; =>This Inner Loop Header: Depth=1
	v_mov_b32_e32 v1, 1
	s_and_saveexec_b32 s1, s0
	s_cbranch_execz .LBB8_217
; %bb.221:                              ;   in Loop: Header=BB8_220 Depth=1
	global_load_b32 v1, v[8:9], off offset:20 scope:SCOPE_SYS
	s_wait_loadcnt 0x0
	global_inv scope:SCOPE_SYS
	v_and_b32_e32 v1, 1, v1
	s_branch .LBB8_217
.LBB8_222:
	global_load_b64 v[2:3], v[2:3], off
	s_wait_xcnt 0x0
	s_and_saveexec_b32 s6, s0
	s_cbranch_execz .LBB8_226
; %bb.223:
	v_mov_b32_e32 v1, 0
	s_clause 0x2
	global_load_b64 v[4:5], v1, s[2:3] offset:40
	global_load_b64 v[12:13], v1, s[2:3] offset:24 scope:SCOPE_SYS
	global_load_b64 v[6:7], v1, s[2:3]
	s_wait_loadcnt 0x2
	v_readfirstlane_b32 s8, v4
	v_readfirstlane_b32 s9, v5
	s_add_nc_u64 s[0:1], s[8:9], 1
	s_delay_alu instid0(SALU_CYCLE_1) | instskip(NEXT) | instid1(SALU_CYCLE_1)
	s_add_nc_u64 s[4:5], s[0:1], s[4:5]
	s_cmp_eq_u64 s[4:5], 0
	s_cselect_b32 s1, s1, s5
	s_cselect_b32 s0, s0, s4
	v_mov_b32_e32 v11, s1
	s_and_b64 s[4:5], s[0:1], s[8:9]
	v_mov_b32_e32 v10, s0
	s_mul_u64 s[4:5], s[4:5], 24
	s_wait_loadcnt 0x0
	v_add_nc_u64_e32 v[8:9], s[4:5], v[6:7]
	global_store_b64 v[8:9], v[12:13], off
	global_wb scope:SCOPE_SYS
	s_wait_storecnt 0x0
	s_wait_xcnt 0x0
	global_atomic_cmpswap_b64 v[6:7], v1, v[10:13], s[2:3] offset:24 th:TH_ATOMIC_RETURN scope:SCOPE_SYS
	s_wait_loadcnt 0x0
	v_cmp_ne_u64_e32 vcc_lo, v[6:7], v[12:13]
	s_and_b32 exec_lo, exec_lo, vcc_lo
	s_cbranch_execz .LBB8_226
; %bb.224:
	s_mov_b32 s4, 0
.LBB8_225:                              ; =>This Inner Loop Header: Depth=1
	v_dual_mov_b32 v4, s0 :: v_dual_mov_b32 v5, s1
	s_sleep 1
	global_store_b64 v[8:9], v[6:7], off
	global_wb scope:SCOPE_SYS
	s_wait_storecnt 0x0
	s_wait_xcnt 0x0
	global_atomic_cmpswap_b64 v[4:5], v1, v[4:7], s[2:3] offset:24 th:TH_ATOMIC_RETURN scope:SCOPE_SYS
	s_wait_loadcnt 0x0
	v_cmp_eq_u64_e32 vcc_lo, v[4:5], v[6:7]
	v_mov_b64_e32 v[6:7], v[4:5]
	s_or_b32 s4, vcc_lo, s4
	s_delay_alu instid0(SALU_CYCLE_1)
	s_and_not1_b32 exec_lo, exec_lo, s4
	s_cbranch_execnz .LBB8_225
.LBB8_226:
	s_or_b32 exec_lo, exec_lo, s6
	s_get_pc_i64 s[4:5]
	s_add_nc_u64 s[4:5], s[4:5], .str.28@rel64+4
	s_delay_alu instid0(SALU_CYCLE_1)
	s_cmp_lg_u64 s[4:5], 0
	s_cbranch_scc0 .LBB8_312
; %bb.227:
	v_mov_b64_e32 v[6:7], 0x100000002
	s_wait_loadcnt 0x0
	v_dual_mov_b32 v9, v3 :: v_dual_bitop2_b32 v8, -3, v2 bitop3:0x40
	v_mov_b32_e32 v5, 0
	s_mov_b64 s[6:7], 35
	s_branch .LBB8_229
.LBB8_228:                              ;   in Loop: Header=BB8_229 Depth=1
	s_or_b32 exec_lo, exec_lo, s12
	s_sub_nc_u64 s[6:7], s[6:7], s[8:9]
	s_add_nc_u64 s[4:5], s[4:5], s[8:9]
	s_cmp_lg_u64 s[6:7], 0
	s_cbranch_scc0 .LBB8_311
.LBB8_229:                              ; =>This Loop Header: Depth=1
                                        ;     Child Loop BB8_232 Depth 2
                                        ;     Child Loop BB8_240 Depth 2
	;; [unrolled: 1-line block ×11, first 2 shown]
	s_wait_loadcnt 0x0
	v_min_u64 v[10:11], s[6:7], 56
	v_cmp_gt_u64_e64 s0, s[6:7], 7
	s_and_b32 vcc_lo, exec_lo, s0
	v_readfirstlane_b32 s8, v10
	v_readfirstlane_b32 s9, v11
	s_cbranch_vccnz .LBB8_234
; %bb.230:                              ;   in Loop: Header=BB8_229 Depth=1
	v_mov_b64_e32 v[10:11], 0
	s_cmp_eq_u64 s[6:7], 0
	s_cbranch_scc1 .LBB8_233
; %bb.231:                              ;   in Loop: Header=BB8_229 Depth=1
	s_mov_b64 s[0:1], 0
	s_mov_b64 s[10:11], 0
.LBB8_232:                              ;   Parent Loop BB8_229 Depth=1
                                        ; =>  This Inner Loop Header: Depth=2
	s_wait_xcnt 0x0
	s_add_nc_u64 s[12:13], s[4:5], s[10:11]
	s_add_nc_u64 s[10:11], s[10:11], 1
	global_load_u8 v1, v5, s[12:13]
	s_cmp_lg_u32 s8, s10
	s_wait_loadcnt 0x0
	v_and_b32_e32 v4, 0xffff, v1
	s_delay_alu instid0(VALU_DEP_1) | instskip(SKIP_1) | instid1(VALU_DEP_1)
	v_lshlrev_b64_e32 v[12:13], s0, v[4:5]
	s_add_nc_u64 s[0:1], s[0:1], 8
	v_or_b32_e32 v10, v12, v10
	s_delay_alu instid0(VALU_DEP_2)
	v_or_b32_e32 v11, v13, v11
	s_cbranch_scc1 .LBB8_232
.LBB8_233:                              ;   in Loop: Header=BB8_229 Depth=1
	s_mov_b32 s0, 0
	s_mov_b64 s[10:11], s[4:5]
	s_branch .LBB8_235
.LBB8_234:                              ;   in Loop: Header=BB8_229 Depth=1
	s_add_nc_u64 s[10:11], s[4:5], 8
	s_mov_b32 s0, -1
.LBB8_235:                              ;   in Loop: Header=BB8_229 Depth=1
	s_delay_alu instid0(SALU_CYCLE_1)
	s_and_not1_b32 vcc_lo, exec_lo, s0
	s_mov_b32 s14, 0
	s_cbranch_vccnz .LBB8_237
; %bb.236:                              ;   in Loop: Header=BB8_229 Depth=1
	global_load_b64 v[10:11], v5, s[4:5]
	s_add_co_i32 s14, s8, -8
.LBB8_237:                              ;   in Loop: Header=BB8_229 Depth=1
	s_delay_alu instid0(SALU_CYCLE_1)
	s_cmp_gt_u32 s14, 7
	s_cbranch_scc1 .LBB8_242
; %bb.238:                              ;   in Loop: Header=BB8_229 Depth=1
	v_mov_b64_e32 v[12:13], 0
	s_cmp_eq_u32 s14, 0
	s_cbranch_scc1 .LBB8_241
; %bb.239:                              ;   in Loop: Header=BB8_229 Depth=1
	s_mov_b64 s[0:1], 0
	s_wait_xcnt 0x0
	s_mov_b64 s[12:13], 0
.LBB8_240:                              ;   Parent Loop BB8_229 Depth=1
                                        ; =>  This Inner Loop Header: Depth=2
	s_wait_xcnt 0x0
	s_add_nc_u64 s[20:21], s[10:11], s[12:13]
	s_add_nc_u64 s[12:13], s[12:13], 1
	global_load_u8 v1, v5, s[20:21]
	s_cmp_lg_u32 s14, s12
	s_wait_loadcnt 0x0
	v_and_b32_e32 v4, 0xffff, v1
	s_delay_alu instid0(VALU_DEP_1) | instskip(SKIP_1) | instid1(VALU_DEP_1)
	v_lshlrev_b64_e32 v[14:15], s0, v[4:5]
	s_add_nc_u64 s[0:1], s[0:1], 8
	v_or_b32_e32 v12, v14, v12
	s_delay_alu instid0(VALU_DEP_2)
	v_or_b32_e32 v13, v15, v13
	s_cbranch_scc1 .LBB8_240
.LBB8_241:                              ;   in Loop: Header=BB8_229 Depth=1
	s_wait_xcnt 0x0
	s_mov_b32 s12, 0
	s_mov_b64 s[0:1], s[10:11]
	s_branch .LBB8_243
.LBB8_242:                              ;   in Loop: Header=BB8_229 Depth=1
	s_add_nc_u64 s[0:1], s[10:11], 8
	s_wait_xcnt 0x0
	s_mov_b32 s12, -1
                                        ; implicit-def: $vgpr12_vgpr13
.LBB8_243:                              ;   in Loop: Header=BB8_229 Depth=1
	s_delay_alu instid0(SALU_CYCLE_1)
	s_and_not1_b32 vcc_lo, exec_lo, s12
	s_mov_b32 s15, 0
	s_cbranch_vccnz .LBB8_245
; %bb.244:                              ;   in Loop: Header=BB8_229 Depth=1
	global_load_b64 v[12:13], v5, s[10:11]
	s_add_co_i32 s15, s14, -8
.LBB8_245:                              ;   in Loop: Header=BB8_229 Depth=1
	s_delay_alu instid0(SALU_CYCLE_1)
	s_cmp_gt_u32 s15, 7
	s_cbranch_scc1 .LBB8_250
; %bb.246:                              ;   in Loop: Header=BB8_229 Depth=1
	v_mov_b64_e32 v[14:15], 0
	s_cmp_eq_u32 s15, 0
	s_cbranch_scc1 .LBB8_249
; %bb.247:                              ;   in Loop: Header=BB8_229 Depth=1
	s_wait_xcnt 0x0
	s_mov_b64 s[10:11], 0
	s_mov_b64 s[12:13], 0
.LBB8_248:                              ;   Parent Loop BB8_229 Depth=1
                                        ; =>  This Inner Loop Header: Depth=2
	s_wait_xcnt 0x0
	s_add_nc_u64 s[20:21], s[0:1], s[12:13]
	s_add_nc_u64 s[12:13], s[12:13], 1
	global_load_u8 v1, v5, s[20:21]
	s_cmp_lg_u32 s15, s12
	s_wait_loadcnt 0x0
	v_and_b32_e32 v4, 0xffff, v1
	s_delay_alu instid0(VALU_DEP_1) | instskip(SKIP_1) | instid1(VALU_DEP_1)
	v_lshlrev_b64_e32 v[16:17], s10, v[4:5]
	s_add_nc_u64 s[10:11], s[10:11], 8
	v_or_b32_e32 v14, v16, v14
	s_delay_alu instid0(VALU_DEP_2)
	v_or_b32_e32 v15, v17, v15
	s_cbranch_scc1 .LBB8_248
.LBB8_249:                              ;   in Loop: Header=BB8_229 Depth=1
	s_mov_b32 s12, 0
	s_wait_xcnt 0x0
	s_mov_b64 s[10:11], s[0:1]
	s_branch .LBB8_251
.LBB8_250:                              ;   in Loop: Header=BB8_229 Depth=1
	s_wait_xcnt 0x0
	s_add_nc_u64 s[10:11], s[0:1], 8
	s_mov_b32 s12, -1
.LBB8_251:                              ;   in Loop: Header=BB8_229 Depth=1
	s_delay_alu instid0(SALU_CYCLE_1)
	s_and_not1_b32 vcc_lo, exec_lo, s12
	s_mov_b32 s14, 0
	s_cbranch_vccnz .LBB8_253
; %bb.252:                              ;   in Loop: Header=BB8_229 Depth=1
	global_load_b64 v[14:15], v5, s[0:1]
	s_add_co_i32 s14, s15, -8
.LBB8_253:                              ;   in Loop: Header=BB8_229 Depth=1
	s_delay_alu instid0(SALU_CYCLE_1)
	s_cmp_gt_u32 s14, 7
	s_cbranch_scc1 .LBB8_258
; %bb.254:                              ;   in Loop: Header=BB8_229 Depth=1
	v_mov_b64_e32 v[16:17], 0
	s_cmp_eq_u32 s14, 0
	s_cbranch_scc1 .LBB8_257
; %bb.255:                              ;   in Loop: Header=BB8_229 Depth=1
	s_wait_xcnt 0x0
	s_mov_b64 s[0:1], 0
	s_mov_b64 s[12:13], 0
.LBB8_256:                              ;   Parent Loop BB8_229 Depth=1
                                        ; =>  This Inner Loop Header: Depth=2
	s_wait_xcnt 0x0
	s_add_nc_u64 s[20:21], s[10:11], s[12:13]
	s_add_nc_u64 s[12:13], s[12:13], 1
	global_load_u8 v1, v5, s[20:21]
	s_cmp_lg_u32 s14, s12
	s_wait_loadcnt 0x0
	v_and_b32_e32 v4, 0xffff, v1
	s_delay_alu instid0(VALU_DEP_1) | instskip(SKIP_1) | instid1(VALU_DEP_1)
	v_lshlrev_b64_e32 v[18:19], s0, v[4:5]
	s_add_nc_u64 s[0:1], s[0:1], 8
	v_or_b32_e32 v16, v18, v16
	s_delay_alu instid0(VALU_DEP_2)
	v_or_b32_e32 v17, v19, v17
	s_cbranch_scc1 .LBB8_256
.LBB8_257:                              ;   in Loop: Header=BB8_229 Depth=1
	s_mov_b32 s12, 0
	s_wait_xcnt 0x0
	s_mov_b64 s[0:1], s[10:11]
	s_branch .LBB8_259
.LBB8_258:                              ;   in Loop: Header=BB8_229 Depth=1
	s_wait_xcnt 0x0
	s_add_nc_u64 s[0:1], s[10:11], 8
	s_mov_b32 s12, -1
                                        ; implicit-def: $vgpr16_vgpr17
.LBB8_259:                              ;   in Loop: Header=BB8_229 Depth=1
	s_delay_alu instid0(SALU_CYCLE_1)
	s_and_not1_b32 vcc_lo, exec_lo, s12
	s_mov_b32 s15, 0
	s_cbranch_vccnz .LBB8_261
; %bb.260:                              ;   in Loop: Header=BB8_229 Depth=1
	global_load_b64 v[16:17], v5, s[10:11]
	s_add_co_i32 s15, s14, -8
.LBB8_261:                              ;   in Loop: Header=BB8_229 Depth=1
	s_delay_alu instid0(SALU_CYCLE_1)
	s_cmp_gt_u32 s15, 7
	s_cbranch_scc1 .LBB8_266
; %bb.262:                              ;   in Loop: Header=BB8_229 Depth=1
	v_mov_b64_e32 v[18:19], 0
	s_cmp_eq_u32 s15, 0
	s_cbranch_scc1 .LBB8_265
; %bb.263:                              ;   in Loop: Header=BB8_229 Depth=1
	s_wait_xcnt 0x0
	s_mov_b64 s[10:11], 0
	s_mov_b64 s[12:13], 0
.LBB8_264:                              ;   Parent Loop BB8_229 Depth=1
                                        ; =>  This Inner Loop Header: Depth=2
	s_wait_xcnt 0x0
	s_add_nc_u64 s[20:21], s[0:1], s[12:13]
	s_add_nc_u64 s[12:13], s[12:13], 1
	global_load_u8 v1, v5, s[20:21]
	s_cmp_lg_u32 s15, s12
	s_wait_loadcnt 0x0
	v_and_b32_e32 v4, 0xffff, v1
	s_delay_alu instid0(VALU_DEP_1) | instskip(SKIP_1) | instid1(VALU_DEP_1)
	v_lshlrev_b64_e32 v[20:21], s10, v[4:5]
	s_add_nc_u64 s[10:11], s[10:11], 8
	v_or_b32_e32 v18, v20, v18
	s_delay_alu instid0(VALU_DEP_2)
	v_or_b32_e32 v19, v21, v19
	s_cbranch_scc1 .LBB8_264
.LBB8_265:                              ;   in Loop: Header=BB8_229 Depth=1
	s_mov_b32 s12, 0
	s_wait_xcnt 0x0
	s_mov_b64 s[10:11], s[0:1]
	s_branch .LBB8_267
.LBB8_266:                              ;   in Loop: Header=BB8_229 Depth=1
	s_wait_xcnt 0x0
	s_add_nc_u64 s[10:11], s[0:1], 8
	s_mov_b32 s12, -1
.LBB8_267:                              ;   in Loop: Header=BB8_229 Depth=1
	s_delay_alu instid0(SALU_CYCLE_1)
	s_and_not1_b32 vcc_lo, exec_lo, s12
	s_mov_b32 s14, 0
	s_cbranch_vccnz .LBB8_269
; %bb.268:                              ;   in Loop: Header=BB8_229 Depth=1
	global_load_b64 v[18:19], v5, s[0:1]
	s_add_co_i32 s14, s15, -8
.LBB8_269:                              ;   in Loop: Header=BB8_229 Depth=1
	s_delay_alu instid0(SALU_CYCLE_1)
	s_cmp_gt_u32 s14, 7
	s_cbranch_scc1 .LBB8_274
; %bb.270:                              ;   in Loop: Header=BB8_229 Depth=1
	v_mov_b64_e32 v[20:21], 0
	s_cmp_eq_u32 s14, 0
	s_cbranch_scc1 .LBB8_273
; %bb.271:                              ;   in Loop: Header=BB8_229 Depth=1
	s_wait_xcnt 0x0
	s_mov_b64 s[0:1], 0
	s_mov_b64 s[12:13], 0
.LBB8_272:                              ;   Parent Loop BB8_229 Depth=1
                                        ; =>  This Inner Loop Header: Depth=2
	s_wait_xcnt 0x0
	s_add_nc_u64 s[20:21], s[10:11], s[12:13]
	s_add_nc_u64 s[12:13], s[12:13], 1
	global_load_u8 v1, v5, s[20:21]
	s_cmp_lg_u32 s14, s12
	s_wait_loadcnt 0x0
	v_and_b32_e32 v4, 0xffff, v1
	s_delay_alu instid0(VALU_DEP_1) | instskip(SKIP_1) | instid1(VALU_DEP_1)
	v_lshlrev_b64_e32 v[22:23], s0, v[4:5]
	s_add_nc_u64 s[0:1], s[0:1], 8
	v_or_b32_e32 v20, v22, v20
	s_delay_alu instid0(VALU_DEP_2)
	v_or_b32_e32 v21, v23, v21
	s_cbranch_scc1 .LBB8_272
.LBB8_273:                              ;   in Loop: Header=BB8_229 Depth=1
	s_mov_b32 s12, 0
	s_wait_xcnt 0x0
	s_mov_b64 s[0:1], s[10:11]
	s_branch .LBB8_275
.LBB8_274:                              ;   in Loop: Header=BB8_229 Depth=1
	s_wait_xcnt 0x0
	s_add_nc_u64 s[0:1], s[10:11], 8
	s_mov_b32 s12, -1
                                        ; implicit-def: $vgpr20_vgpr21
.LBB8_275:                              ;   in Loop: Header=BB8_229 Depth=1
	s_delay_alu instid0(SALU_CYCLE_1)
	s_and_not1_b32 vcc_lo, exec_lo, s12
	s_mov_b32 s15, 0
	s_cbranch_vccnz .LBB8_277
; %bb.276:                              ;   in Loop: Header=BB8_229 Depth=1
	global_load_b64 v[20:21], v5, s[10:11]
	s_add_co_i32 s15, s14, -8
.LBB8_277:                              ;   in Loop: Header=BB8_229 Depth=1
	s_delay_alu instid0(SALU_CYCLE_1)
	s_cmp_gt_u32 s15, 7
	s_cbranch_scc1 .LBB8_282
; %bb.278:                              ;   in Loop: Header=BB8_229 Depth=1
	v_mov_b64_e32 v[22:23], 0
	s_cmp_eq_u32 s15, 0
	s_cbranch_scc1 .LBB8_281
; %bb.279:                              ;   in Loop: Header=BB8_229 Depth=1
	s_wait_xcnt 0x0
	s_mov_b64 s[10:11], 0
	s_mov_b64 s[12:13], s[0:1]
.LBB8_280:                              ;   Parent Loop BB8_229 Depth=1
                                        ; =>  This Inner Loop Header: Depth=2
	global_load_u8 v1, v5, s[12:13]
	s_add_co_i32 s15, s15, -1
	s_wait_xcnt 0x0
	s_add_nc_u64 s[12:13], s[12:13], 1
	s_cmp_lg_u32 s15, 0
	s_wait_loadcnt 0x0
	v_and_b32_e32 v4, 0xffff, v1
	s_delay_alu instid0(VALU_DEP_1) | instskip(SKIP_1) | instid1(VALU_DEP_1)
	v_lshlrev_b64_e32 v[24:25], s10, v[4:5]
	s_add_nc_u64 s[10:11], s[10:11], 8
	v_or_b32_e32 v22, v24, v22
	s_delay_alu instid0(VALU_DEP_2)
	v_or_b32_e32 v23, v25, v23
	s_cbranch_scc1 .LBB8_280
.LBB8_281:                              ;   in Loop: Header=BB8_229 Depth=1
	s_wait_xcnt 0x0
	s_mov_b32 s10, 0
	s_branch .LBB8_283
.LBB8_282:                              ;   in Loop: Header=BB8_229 Depth=1
	s_wait_xcnt 0x0
	s_mov_b32 s10, -1
.LBB8_283:                              ;   in Loop: Header=BB8_229 Depth=1
	s_delay_alu instid0(SALU_CYCLE_1)
	s_and_not1_b32 vcc_lo, exec_lo, s10
	s_cbranch_vccnz .LBB8_285
; %bb.284:                              ;   in Loop: Header=BB8_229 Depth=1
	global_load_b64 v[22:23], v5, s[0:1]
.LBB8_285:                              ;   in Loop: Header=BB8_229 Depth=1
	s_wait_xcnt 0x0
	v_readfirstlane_b32 s0, v43
	v_mov_b64_e32 v[28:29], 0
	s_delay_alu instid0(VALU_DEP_2)
	v_cmp_eq_u32_e64 s0, s0, v43
	s_and_saveexec_b32 s1, s0
	s_cbranch_execz .LBB8_291
; %bb.286:                              ;   in Loop: Header=BB8_229 Depth=1
	global_load_b64 v[26:27], v5, s[2:3] offset:24 scope:SCOPE_SYS
	s_wait_loadcnt 0x0
	global_inv scope:SCOPE_SYS
	s_clause 0x1
	global_load_b64 v[24:25], v5, s[2:3] offset:40
	global_load_b64 v[28:29], v5, s[2:3]
	s_mov_b32 s10, exec_lo
	s_wait_loadcnt 0x1
	v_and_b32_e32 v24, v24, v26
	v_and_b32_e32 v25, v25, v27
	s_delay_alu instid0(VALU_DEP_1) | instskip(SKIP_1) | instid1(VALU_DEP_1)
	v_mul_u64_e32 v[24:25], 24, v[24:25]
	s_wait_loadcnt 0x0
	v_add_nc_u64_e32 v[24:25], v[28:29], v[24:25]
	global_load_b64 v[24:25], v[24:25], off scope:SCOPE_SYS
	s_wait_xcnt 0x0
	s_wait_loadcnt 0x0
	global_atomic_cmpswap_b64 v[28:29], v5, v[24:27], s[2:3] offset:24 th:TH_ATOMIC_RETURN scope:SCOPE_SYS
	s_wait_loadcnt 0x0
	global_inv scope:SCOPE_SYS
	s_wait_xcnt 0x0
	v_cmpx_ne_u64_e64 v[28:29], v[26:27]
	s_cbranch_execz .LBB8_290
; %bb.287:                              ;   in Loop: Header=BB8_229 Depth=1
	s_mov_b32 s11, 0
.LBB8_288:                              ;   Parent Loop BB8_229 Depth=1
                                        ; =>  This Inner Loop Header: Depth=2
	s_sleep 1
	s_clause 0x1
	global_load_b64 v[24:25], v5, s[2:3] offset:40
	global_load_b64 v[30:31], v5, s[2:3]
	v_mov_b64_e32 v[26:27], v[28:29]
	s_wait_loadcnt 0x1
	s_delay_alu instid0(VALU_DEP_1) | instskip(SKIP_1) | instid1(VALU_DEP_1)
	v_and_b32_e32 v1, v24, v26
	s_wait_loadcnt 0x0
	v_mad_nc_u64_u32 v[28:29], v1, 24, v[30:31]
	s_delay_alu instid0(VALU_DEP_3) | instskip(NEXT) | instid1(VALU_DEP_1)
	v_and_b32_e32 v1, v25, v27
	v_mad_u32 v29, v1, 24, v29
	global_load_b64 v[24:25], v[28:29], off scope:SCOPE_SYS
	s_wait_xcnt 0x0
	s_wait_loadcnt 0x0
	global_atomic_cmpswap_b64 v[28:29], v5, v[24:27], s[2:3] offset:24 th:TH_ATOMIC_RETURN scope:SCOPE_SYS
	s_wait_loadcnt 0x0
	global_inv scope:SCOPE_SYS
	v_cmp_eq_u64_e32 vcc_lo, v[28:29], v[26:27]
	s_or_b32 s11, vcc_lo, s11
	s_wait_xcnt 0x0
	s_and_not1_b32 exec_lo, exec_lo, s11
	s_cbranch_execnz .LBB8_288
; %bb.289:                              ;   in Loop: Header=BB8_229 Depth=1
	s_or_b32 exec_lo, exec_lo, s11
.LBB8_290:                              ;   in Loop: Header=BB8_229 Depth=1
	s_delay_alu instid0(SALU_CYCLE_1)
	s_or_b32 exec_lo, exec_lo, s10
.LBB8_291:                              ;   in Loop: Header=BB8_229 Depth=1
	s_delay_alu instid0(SALU_CYCLE_1)
	s_or_b32 exec_lo, exec_lo, s1
	s_clause 0x1
	global_load_b64 v[30:31], v5, s[2:3] offset:40
	global_load_b128 v[24:27], v5, s[2:3]
	v_readfirstlane_b32 s10, v28
	v_readfirstlane_b32 s11, v29
	s_mov_b32 s1, exec_lo
	s_wait_loadcnt 0x1
	v_and_b32_e32 v30, s10, v30
	v_and_b32_e32 v31, s11, v31
	s_delay_alu instid0(VALU_DEP_1) | instskip(SKIP_1) | instid1(VALU_DEP_1)
	v_mul_u64_e32 v[28:29], 24, v[30:31]
	s_wait_loadcnt 0x0
	v_add_nc_u64_e32 v[28:29], v[24:25], v[28:29]
	s_wait_xcnt 0x0
	s_and_saveexec_b32 s12, s0
	s_cbranch_execz .LBB8_293
; %bb.292:                              ;   in Loop: Header=BB8_229 Depth=1
	v_mov_b32_e32 v4, s1
	global_store_b128 v[28:29], v[4:7], off offset:8
.LBB8_293:                              ;   in Loop: Header=BB8_229 Depth=1
	s_wait_xcnt 0x0
	s_or_b32 exec_lo, exec_lo, s12
	v_cmp_gt_u64_e64 s1, s[6:7], 56
	v_lshlrev_b64_e32 v[30:31], 12, v[30:31]
	v_and_b32_e32 v1, 0xffffff1f, v8
	s_and_b32 s1, s1, exec_lo
	s_delay_alu instid0(VALU_DEP_2) | instskip(SKIP_4) | instid1(VALU_DEP_2)
	v_add_nc_u64_e32 v[26:27], v[26:27], v[30:31]
	s_cselect_b32 s1, 0, 2
	s_lshl_b32 s12, s8, 2
	v_or_b32_e32 v1, s1, v1
	s_add_co_i32 s1, s12, 28
	v_readfirstlane_b32 s12, v26
	s_delay_alu instid0(VALU_DEP_3) | instskip(NEXT) | instid1(VALU_DEP_3)
	v_readfirstlane_b32 s13, v27
	v_and_or_b32 v8, 0x1e0, s1, v1
	s_clause 0x3
	global_store_b128 v0, v[8:11], s[12:13]
	global_store_b128 v0, v[12:15], s[12:13] offset:16
	global_store_b128 v0, v[16:19], s[12:13] offset:32
	;; [unrolled: 1-line block ×3, first 2 shown]
	s_wait_xcnt 0x0
	s_and_saveexec_b32 s1, s0
	s_cbranch_execz .LBB8_301
; %bb.294:                              ;   in Loop: Header=BB8_229 Depth=1
	s_clause 0x1
	global_load_b64 v[16:17], v5, s[2:3] offset:32 scope:SCOPE_SYS
	global_load_b64 v[8:9], v5, s[2:3] offset:40
	s_mov_b32 s12, exec_lo
	v_dual_mov_b32 v14, s10 :: v_dual_mov_b32 v15, s11
	s_wait_loadcnt 0x0
	v_and_b32_e32 v9, s11, v9
	v_and_b32_e32 v8, s10, v8
	s_delay_alu instid0(VALU_DEP_1) | instskip(NEXT) | instid1(VALU_DEP_1)
	v_mul_u64_e32 v[8:9], 24, v[8:9]
	v_add_nc_u64_e32 v[12:13], v[24:25], v[8:9]
	global_store_b64 v[12:13], v[16:17], off
	global_wb scope:SCOPE_SYS
	s_wait_storecnt 0x0
	s_wait_xcnt 0x0
	global_atomic_cmpswap_b64 v[10:11], v5, v[14:17], s[2:3] offset:32 th:TH_ATOMIC_RETURN scope:SCOPE_SYS
	s_wait_loadcnt 0x0
	v_cmpx_ne_u64_e64 v[10:11], v[16:17]
	s_cbranch_execz .LBB8_297
; %bb.295:                              ;   in Loop: Header=BB8_229 Depth=1
	s_mov_b32 s13, 0
.LBB8_296:                              ;   Parent Loop BB8_229 Depth=1
                                        ; =>  This Inner Loop Header: Depth=2
	v_dual_mov_b32 v8, s10 :: v_dual_mov_b32 v9, s11
	s_sleep 1
	global_store_b64 v[12:13], v[10:11], off
	global_wb scope:SCOPE_SYS
	s_wait_storecnt 0x0
	s_wait_xcnt 0x0
	global_atomic_cmpswap_b64 v[8:9], v5, v[8:11], s[2:3] offset:32 th:TH_ATOMIC_RETURN scope:SCOPE_SYS
	s_wait_loadcnt 0x0
	v_cmp_eq_u64_e32 vcc_lo, v[8:9], v[10:11]
	v_mov_b64_e32 v[10:11], v[8:9]
	s_or_b32 s13, vcc_lo, s13
	s_delay_alu instid0(SALU_CYCLE_1)
	s_and_not1_b32 exec_lo, exec_lo, s13
	s_cbranch_execnz .LBB8_296
.LBB8_297:                              ;   in Loop: Header=BB8_229 Depth=1
	s_or_b32 exec_lo, exec_lo, s12
	global_load_b64 v[8:9], v5, s[2:3] offset:16
	s_mov_b32 s13, exec_lo
	s_mov_b32 s12, exec_lo
	v_mbcnt_lo_u32_b32 v1, s13, 0
	s_wait_xcnt 0x0
	s_delay_alu instid0(VALU_DEP_1)
	v_cmpx_eq_u32_e32 0, v1
	s_cbranch_execz .LBB8_299
; %bb.298:                              ;   in Loop: Header=BB8_229 Depth=1
	s_bcnt1_i32_b32 s13, s13
	s_delay_alu instid0(SALU_CYCLE_1)
	v_mov_b32_e32 v4, s13
	global_wb scope:SCOPE_SYS
	s_wait_loadcnt 0x0
	s_wait_storecnt 0x0
	global_atomic_add_u64 v[8:9], v[4:5], off offset:8 scope:SCOPE_SYS
.LBB8_299:                              ;   in Loop: Header=BB8_229 Depth=1
	s_wait_xcnt 0x0
	s_or_b32 exec_lo, exec_lo, s12
	s_wait_loadcnt 0x0
	global_load_b64 v[10:11], v[8:9], off offset:16
	s_wait_loadcnt 0x0
	v_cmp_eq_u64_e32 vcc_lo, 0, v[10:11]
	s_cbranch_vccnz .LBB8_301
; %bb.300:                              ;   in Loop: Header=BB8_229 Depth=1
	global_load_b32 v4, v[8:9], off offset:24
	s_wait_loadcnt 0x0
	v_readfirstlane_b32 s12, v4
	global_wb scope:SCOPE_SYS
	s_wait_storecnt 0x0
	s_wait_xcnt 0x0
	global_store_b64 v[10:11], v[4:5], off scope:SCOPE_SYS
	s_and_b32 m0, s12, 0xffffff
	s_sendmsg sendmsg(MSG_INTERRUPT)
.LBB8_301:                              ;   in Loop: Header=BB8_229 Depth=1
	s_wait_xcnt 0x0
	s_or_b32 exec_lo, exec_lo, s1
	v_mov_b32_e32 v1, v5
	s_delay_alu instid0(VALU_DEP_1)
	v_add_nc_u64_e32 v[8:9], v[26:27], v[0:1]
	s_branch .LBB8_305
.LBB8_302:                              ;   in Loop: Header=BB8_305 Depth=2
	s_wait_xcnt 0x0
	s_or_b32 exec_lo, exec_lo, s1
	s_delay_alu instid0(VALU_DEP_1)
	v_readfirstlane_b32 s1, v1
	s_cmp_eq_u32 s1, 0
	s_cbranch_scc1 .LBB8_304
; %bb.303:                              ;   in Loop: Header=BB8_305 Depth=2
	s_sleep 1
	s_cbranch_execnz .LBB8_305
	s_branch .LBB8_307
.LBB8_304:                              ;   in Loop: Header=BB8_229 Depth=1
	s_branch .LBB8_307
.LBB8_305:                              ;   Parent Loop BB8_229 Depth=1
                                        ; =>  This Inner Loop Header: Depth=2
	v_mov_b32_e32 v1, 1
	s_and_saveexec_b32 s1, s0
	s_cbranch_execz .LBB8_302
; %bb.306:                              ;   in Loop: Header=BB8_305 Depth=2
	global_load_b32 v1, v[28:29], off offset:20 scope:SCOPE_SYS
	s_wait_loadcnt 0x0
	global_inv scope:SCOPE_SYS
	v_and_b32_e32 v1, 1, v1
	s_branch .LBB8_302
.LBB8_307:                              ;   in Loop: Header=BB8_229 Depth=1
	global_load_b128 v[8:11], v[8:9], off
	s_wait_xcnt 0x0
	s_and_saveexec_b32 s12, s0
	s_cbranch_execz .LBB8_228
; %bb.308:                              ;   in Loop: Header=BB8_229 Depth=1
	s_wait_loadcnt 0x0
	s_clause 0x2
	global_load_b64 v[10:11], v5, s[2:3] offset:40
	global_load_b64 v[18:19], v5, s[2:3] offset:24 scope:SCOPE_SYS
	global_load_b64 v[12:13], v5, s[2:3]
	s_wait_loadcnt 0x2
	v_readfirstlane_b32 s14, v10
	v_readfirstlane_b32 s15, v11
	s_add_nc_u64 s[0:1], s[14:15], 1
	s_delay_alu instid0(SALU_CYCLE_1) | instskip(NEXT) | instid1(SALU_CYCLE_1)
	s_add_nc_u64 s[10:11], s[0:1], s[10:11]
	s_cmp_eq_u64 s[10:11], 0
	s_cselect_b32 s1, s1, s11
	s_cselect_b32 s0, s0, s10
	s_delay_alu instid0(SALU_CYCLE_1) | instskip(SKIP_1) | instid1(SALU_CYCLE_1)
	v_dual_mov_b32 v17, s1 :: v_dual_mov_b32 v16, s0
	s_and_b64 s[10:11], s[0:1], s[14:15]
	s_mul_u64 s[10:11], s[10:11], 24
	s_wait_loadcnt 0x0
	v_add_nc_u64_e32 v[14:15], s[10:11], v[12:13]
	global_store_b64 v[14:15], v[18:19], off
	global_wb scope:SCOPE_SYS
	s_wait_storecnt 0x0
	s_wait_xcnt 0x0
	global_atomic_cmpswap_b64 v[12:13], v5, v[16:19], s[2:3] offset:24 th:TH_ATOMIC_RETURN scope:SCOPE_SYS
	s_wait_loadcnt 0x0
	v_cmp_ne_u64_e32 vcc_lo, v[12:13], v[18:19]
	s_and_b32 exec_lo, exec_lo, vcc_lo
	s_cbranch_execz .LBB8_228
; %bb.309:                              ;   in Loop: Header=BB8_229 Depth=1
	s_mov_b32 s10, 0
.LBB8_310:                              ;   Parent Loop BB8_229 Depth=1
                                        ; =>  This Inner Loop Header: Depth=2
	v_dual_mov_b32 v10, s0 :: v_dual_mov_b32 v11, s1
	s_sleep 1
	global_store_b64 v[14:15], v[12:13], off
	global_wb scope:SCOPE_SYS
	s_wait_storecnt 0x0
	s_wait_xcnt 0x0
	global_atomic_cmpswap_b64 v[10:11], v5, v[10:13], s[2:3] offset:24 th:TH_ATOMIC_RETURN scope:SCOPE_SYS
	s_wait_loadcnt 0x0
	v_cmp_eq_u64_e32 vcc_lo, v[10:11], v[12:13]
	v_mov_b64_e32 v[12:13], v[10:11]
	s_or_b32 s10, vcc_lo, s10
	s_delay_alu instid0(SALU_CYCLE_1)
	s_and_not1_b32 exec_lo, exec_lo, s10
	s_cbranch_execnz .LBB8_310
	s_branch .LBB8_228
.LBB8_311:
	s_mov_b32 s0, 0
	s_branch .LBB8_313
.LBB8_312:
	s_mov_b32 s0, -1
.LBB8_313:
	s_delay_alu instid0(SALU_CYCLE_1)
	s_and_b32 vcc_lo, exec_lo, s0
	s_cbranch_vccz .LBB8_341
; %bb.314:
	v_readfirstlane_b32 s0, v43
	s_wait_loadcnt 0x0
	v_mov_b64_e32 v[10:11], 0
	s_delay_alu instid0(VALU_DEP_2)
	v_cmp_eq_u32_e64 s0, s0, v43
	s_and_saveexec_b32 s1, s0
	s_cbranch_execz .LBB8_320
; %bb.315:
	v_mov_b32_e32 v1, 0
	s_mov_b32 s4, exec_lo
	global_load_b64 v[6:7], v1, s[2:3] offset:24 scope:SCOPE_SYS
	s_wait_loadcnt 0x0
	global_inv scope:SCOPE_SYS
	s_clause 0x1
	global_load_b64 v[4:5], v1, s[2:3] offset:40
	global_load_b64 v[8:9], v1, s[2:3]
	s_wait_loadcnt 0x1
	v_and_b32_e32 v4, v4, v6
	v_and_b32_e32 v5, v5, v7
	s_delay_alu instid0(VALU_DEP_1) | instskip(SKIP_1) | instid1(VALU_DEP_1)
	v_mul_u64_e32 v[4:5], 24, v[4:5]
	s_wait_loadcnt 0x0
	v_add_nc_u64_e32 v[4:5], v[8:9], v[4:5]
	global_load_b64 v[4:5], v[4:5], off scope:SCOPE_SYS
	s_wait_xcnt 0x0
	s_wait_loadcnt 0x0
	global_atomic_cmpswap_b64 v[10:11], v1, v[4:7], s[2:3] offset:24 th:TH_ATOMIC_RETURN scope:SCOPE_SYS
	s_wait_loadcnt 0x0
	global_inv scope:SCOPE_SYS
	s_wait_xcnt 0x0
	v_cmpx_ne_u64_e64 v[10:11], v[6:7]
	s_cbranch_execz .LBB8_319
; %bb.316:
	s_mov_b32 s5, 0
.LBB8_317:                              ; =>This Inner Loop Header: Depth=1
	s_sleep 1
	s_clause 0x1
	global_load_b64 v[4:5], v1, s[2:3] offset:40
	global_load_b64 v[8:9], v1, s[2:3]
	v_mov_b64_e32 v[6:7], v[10:11]
	s_wait_loadcnt 0x1
	s_delay_alu instid0(VALU_DEP_1) | instskip(SKIP_1) | instid1(VALU_DEP_1)
	v_and_b32_e32 v4, v4, v6
	s_wait_loadcnt 0x0
	v_mad_nc_u64_u32 v[8:9], v4, 24, v[8:9]
	s_delay_alu instid0(VALU_DEP_3) | instskip(NEXT) | instid1(VALU_DEP_1)
	v_and_b32_e32 v4, v5, v7
	v_mad_u32 v9, v4, 24, v9
	global_load_b64 v[4:5], v[8:9], off scope:SCOPE_SYS
	s_wait_xcnt 0x0
	s_wait_loadcnt 0x0
	global_atomic_cmpswap_b64 v[10:11], v1, v[4:7], s[2:3] offset:24 th:TH_ATOMIC_RETURN scope:SCOPE_SYS
	s_wait_loadcnt 0x0
	global_inv scope:SCOPE_SYS
	v_cmp_eq_u64_e32 vcc_lo, v[10:11], v[6:7]
	s_or_b32 s5, vcc_lo, s5
	s_wait_xcnt 0x0
	s_and_not1_b32 exec_lo, exec_lo, s5
	s_cbranch_execnz .LBB8_317
; %bb.318:
	s_or_b32 exec_lo, exec_lo, s5
.LBB8_319:
	s_delay_alu instid0(SALU_CYCLE_1)
	s_or_b32 exec_lo, exec_lo, s4
.LBB8_320:
	s_delay_alu instid0(SALU_CYCLE_1)
	s_or_b32 exec_lo, exec_lo, s1
	v_readfirstlane_b32 s4, v10
	v_mov_b32_e32 v4, 0
	v_readfirstlane_b32 s5, v11
	s_mov_b32 s1, exec_lo
	s_clause 0x1
	global_load_b64 v[12:13], v4, s[2:3] offset:40
	global_load_b128 v[6:9], v4, s[2:3]
	s_wait_loadcnt 0x1
	v_and_b32_e32 v12, s4, v12
	v_and_b32_e32 v13, s5, v13
	s_delay_alu instid0(VALU_DEP_1) | instskip(SKIP_1) | instid1(VALU_DEP_1)
	v_mul_u64_e32 v[10:11], 24, v[12:13]
	s_wait_loadcnt 0x0
	v_add_nc_u64_e32 v[10:11], v[6:7], v[10:11]
	s_wait_xcnt 0x0
	s_and_saveexec_b32 s6, s0
	s_cbranch_execz .LBB8_322
; %bb.321:
	v_mov_b64_e32 v[16:17], 0x100000002
	v_dual_mov_b32 v14, s1 :: v_dual_mov_b32 v15, v4
	global_store_b128 v[10:11], v[14:17], off offset:8
.LBB8_322:
	s_wait_xcnt 0x0
	s_or_b32 exec_lo, exec_lo, s6
	v_lshlrev_b64_e32 v[12:13], 12, v[12:13]
	s_mov_b32 s8, 0
	v_and_or_b32 v2, 0xffffff1d, v2, 34
	s_mov_b32 s10, s8
	s_mov_b32 s11, s8
	;; [unrolled: 1-line block ×3, first 2 shown]
	v_mov_b32_e32 v5, v4
	v_add_nc_u64_e32 v[8:9], v[8:9], v[12:13]
	v_mov_b64_e32 v[14:15], s[10:11]
	v_mov_b64_e32 v[12:13], s[8:9]
	s_delay_alu instid0(VALU_DEP_3) | instskip(NEXT) | instid1(VALU_DEP_4)
	v_readfirstlane_b32 s6, v8
	v_readfirstlane_b32 s7, v9
	s_clause 0x3
	global_store_b128 v0, v[2:5], s[6:7]
	global_store_b128 v0, v[12:15], s[6:7] offset:16
	global_store_b128 v0, v[12:15], s[6:7] offset:32
	;; [unrolled: 1-line block ×3, first 2 shown]
	s_wait_xcnt 0x0
	s_and_saveexec_b32 s1, s0
	s_cbranch_execz .LBB8_330
; %bb.323:
	v_dual_mov_b32 v8, 0 :: v_dual_mov_b32 v13, s5
	s_mov_b32 s6, exec_lo
	s_clause 0x1
	global_load_b64 v[14:15], v8, s[2:3] offset:32 scope:SCOPE_SYS
	global_load_b64 v[0:1], v8, s[2:3] offset:40
	s_wait_loadcnt 0x0
	v_dual_mov_b32 v12, s4 :: v_dual_bitop2_b32 v1, s5, v1 bitop3:0x40
	v_and_b32_e32 v0, s4, v0
	s_delay_alu instid0(VALU_DEP_1) | instskip(NEXT) | instid1(VALU_DEP_1)
	v_mul_u64_e32 v[0:1], 24, v[0:1]
	v_add_nc_u64_e32 v[4:5], v[6:7], v[0:1]
	global_store_b64 v[4:5], v[14:15], off
	global_wb scope:SCOPE_SYS
	s_wait_storecnt 0x0
	s_wait_xcnt 0x0
	global_atomic_cmpswap_b64 v[2:3], v8, v[12:15], s[2:3] offset:32 th:TH_ATOMIC_RETURN scope:SCOPE_SYS
	s_wait_loadcnt 0x0
	v_cmpx_ne_u64_e64 v[2:3], v[14:15]
	s_cbranch_execz .LBB8_326
; %bb.324:
	s_mov_b32 s7, 0
.LBB8_325:                              ; =>This Inner Loop Header: Depth=1
	v_dual_mov_b32 v0, s4 :: v_dual_mov_b32 v1, s5
	s_sleep 1
	global_store_b64 v[4:5], v[2:3], off
	global_wb scope:SCOPE_SYS
	s_wait_storecnt 0x0
	s_wait_xcnt 0x0
	global_atomic_cmpswap_b64 v[0:1], v8, v[0:3], s[2:3] offset:32 th:TH_ATOMIC_RETURN scope:SCOPE_SYS
	s_wait_loadcnt 0x0
	v_cmp_eq_u64_e32 vcc_lo, v[0:1], v[2:3]
	v_mov_b64_e32 v[2:3], v[0:1]
	s_or_b32 s7, vcc_lo, s7
	s_delay_alu instid0(SALU_CYCLE_1)
	s_and_not1_b32 exec_lo, exec_lo, s7
	s_cbranch_execnz .LBB8_325
.LBB8_326:
	s_or_b32 exec_lo, exec_lo, s6
	v_mov_b32_e32 v3, 0
	s_mov_b32 s7, exec_lo
	s_mov_b32 s6, exec_lo
	v_mbcnt_lo_u32_b32 v2, s7, 0
	global_load_b64 v[0:1], v3, s[2:3] offset:16
	s_wait_xcnt 0x0
	v_cmpx_eq_u32_e32 0, v2
	s_cbranch_execz .LBB8_328
; %bb.327:
	s_bcnt1_i32_b32 s7, s7
	s_delay_alu instid0(SALU_CYCLE_1)
	v_mov_b32_e32 v2, s7
	global_wb scope:SCOPE_SYS
	s_wait_loadcnt 0x0
	s_wait_storecnt 0x0
	global_atomic_add_u64 v[0:1], v[2:3], off offset:8 scope:SCOPE_SYS
.LBB8_328:
	s_wait_xcnt 0x0
	s_or_b32 exec_lo, exec_lo, s6
	s_wait_loadcnt 0x0
	global_load_b64 v[2:3], v[0:1], off offset:16
	s_wait_loadcnt 0x0
	v_cmp_eq_u64_e32 vcc_lo, 0, v[2:3]
	s_cbranch_vccnz .LBB8_330
; %bb.329:
	global_load_b32 v0, v[0:1], off offset:24
	s_wait_xcnt 0x0
	v_mov_b32_e32 v1, 0
	s_wait_loadcnt 0x0
	v_readfirstlane_b32 s6, v0
	global_wb scope:SCOPE_SYS
	s_wait_storecnt 0x0
	global_store_b64 v[2:3], v[0:1], off scope:SCOPE_SYS
	s_and_b32 m0, s6, 0xffffff
	s_sendmsg sendmsg(MSG_INTERRUPT)
.LBB8_330:
	s_wait_xcnt 0x0
	s_or_b32 exec_lo, exec_lo, s1
	s_branch .LBB8_334
.LBB8_331:                              ;   in Loop: Header=BB8_334 Depth=1
	s_wait_xcnt 0x0
	s_or_b32 exec_lo, exec_lo, s1
	s_delay_alu instid0(VALU_DEP_1)
	v_readfirstlane_b32 s1, v0
	s_cmp_eq_u32 s1, 0
	s_cbranch_scc1 .LBB8_333
; %bb.332:                              ;   in Loop: Header=BB8_334 Depth=1
	s_sleep 1
	s_cbranch_execnz .LBB8_334
	s_branch .LBB8_336
.LBB8_333:
	s_branch .LBB8_336
.LBB8_334:                              ; =>This Inner Loop Header: Depth=1
	v_mov_b32_e32 v0, 1
	s_and_saveexec_b32 s1, s0
	s_cbranch_execz .LBB8_331
; %bb.335:                              ;   in Loop: Header=BB8_334 Depth=1
	global_load_b32 v0, v[10:11], off offset:20 scope:SCOPE_SYS
	s_wait_loadcnt 0x0
	global_inv scope:SCOPE_SYS
	v_and_b32_e32 v0, 1, v0
	s_branch .LBB8_331
.LBB8_336:
	s_and_saveexec_b32 s6, s0
	s_cbranch_execz .LBB8_340
; %bb.337:
	v_mov_b32_e32 v6, 0
	s_clause 0x2
	global_load_b64 v[0:1], v6, s[2:3] offset:40
	global_load_b64 v[10:11], v6, s[2:3] offset:24 scope:SCOPE_SYS
	global_load_b64 v[2:3], v6, s[2:3]
	s_wait_loadcnt 0x2
	v_readfirstlane_b32 s8, v0
	v_readfirstlane_b32 s9, v1
	s_add_nc_u64 s[0:1], s[8:9], 1
	s_delay_alu instid0(SALU_CYCLE_1) | instskip(NEXT) | instid1(SALU_CYCLE_1)
	s_add_nc_u64 s[4:5], s[0:1], s[4:5]
	s_cmp_eq_u64 s[4:5], 0
	s_cselect_b32 s1, s1, s5
	s_cselect_b32 s0, s0, s4
	v_mov_b32_e32 v9, s1
	s_and_b64 s[4:5], s[0:1], s[8:9]
	v_mov_b32_e32 v8, s0
	s_mul_u64 s[4:5], s[4:5], 24
	s_wait_loadcnt 0x0
	v_add_nc_u64_e32 v[4:5], s[4:5], v[2:3]
	global_store_b64 v[4:5], v[10:11], off
	global_wb scope:SCOPE_SYS
	s_wait_storecnt 0x0
	s_wait_xcnt 0x0
	global_atomic_cmpswap_b64 v[2:3], v6, v[8:11], s[2:3] offset:24 th:TH_ATOMIC_RETURN scope:SCOPE_SYS
	s_wait_loadcnt 0x0
	v_cmp_ne_u64_e32 vcc_lo, v[2:3], v[10:11]
	s_and_b32 exec_lo, exec_lo, vcc_lo
	s_cbranch_execz .LBB8_340
; %bb.338:
	s_mov_b32 s4, 0
.LBB8_339:                              ; =>This Inner Loop Header: Depth=1
	v_dual_mov_b32 v0, s0 :: v_dual_mov_b32 v1, s1
	s_sleep 1
	global_store_b64 v[4:5], v[2:3], off
	global_wb scope:SCOPE_SYS
	s_wait_storecnt 0x0
	s_wait_xcnt 0x0
	global_atomic_cmpswap_b64 v[0:1], v6, v[0:3], s[2:3] offset:24 th:TH_ATOMIC_RETURN scope:SCOPE_SYS
	s_wait_loadcnt 0x0
	v_cmp_eq_u64_e32 vcc_lo, v[0:1], v[2:3]
	v_mov_b64_e32 v[2:3], v[0:1]
	s_or_b32 s4, vcc_lo, s4
	s_delay_alu instid0(SALU_CYCLE_1)
	s_and_not1_b32 exec_lo, exec_lo, s4
	s_cbranch_execnz .LBB8_339
.LBB8_340:
	s_or_b32 exec_lo, exec_lo, s6
.LBB8_341:
	s_get_pc_i64 s[0:1]
	s_add_nc_u64 s[0:1], s[0:1], .str.29@rel64+4
	s_get_pc_i64 s[2:3]
	s_add_nc_u64 s[2:3], s[2:3], .str.19@rel64+4
	s_get_pc_i64 s[4:5]
	s_add_nc_u64 s[4:5], s[4:5], __PRETTY_FUNCTION__._ZN7VecsMemIjLi8192EE5fetchEi@rel64+4
	v_dual_mov_b32 v0, s0 :: v_dual_mov_b32 v1, s1
	s_wait_loadcnt 0x0
	v_dual_mov_b32 v2, s2 :: v_dual_mov_b32 v3, s3
	v_dual_mov_b32 v4, 12 :: v_dual_mov_b32 v5, s4
	v_mov_b32_e32 v6, s5
	s_mov_b64 s[8:9], s[82:83]
	s_swap_pc_i64 s[30:31], s[86:87]
	s_or_b32 s0, s24, exec_lo
.LBB8_342:
	s_or_b32 exec_lo, exec_lo, s19
	s_delay_alu instid0(SALU_CYCLE_1) | instskip(SKIP_1) | instid1(SALU_CYCLE_1)
	s_and_not1_b32 s1, s24, exec_lo
	s_and_b32 s0, s0, exec_lo
	s_or_b32 s103, s1, s0
	s_or_not1_b32 s0, s18, exec_lo
.LBB8_343:
	s_or_b32 exec_lo, exec_lo, s17
	s_mov_b32 s1, s101
	s_and_saveexec_b32 s39, s0
	s_cbranch_execz .LBB8_367
; %bb.344:
	s_wait_alu 0xf1fe
	v_add_nc_u64_e32 v[0:1], src_flat_scratch_base_lo, v[94:95]
	v_cmp_ne_u32_e32 vcc_lo, -1, v94
	s_mov_b32 s1, 0
	s_mov_b32 s0, exec_lo
	s_delay_alu instid0(VALU_DEP_2)
	v_dual_cndmask_b32 v1, 0, v1 :: v_dual_cndmask_b32 v0, 0, v0
	scratch_store_b64 off, v[0:1], off offset:8
	s_wait_xcnt 0x0
	v_cmpx_lt_i32_e32 0, v44
	s_cbranch_execz .LBB8_348
; %bb.345:
	v_mov_b32_e32 v0, v44
	s_mov_b32 s2, 20
.LBB8_346:                              ; =>This Inner Loop Header: Depth=1
	scratch_load_b32 v1, off, s2
	s_wait_xcnt 0x0
	s_add_co_i32 s2, s2, 4
	v_add_nc_u32_e32 v0, -1, v0
	s_delay_alu instid0(VALU_DEP_1) | instskip(SKIP_3) | instid1(VALU_DEP_1)
	v_cmp_eq_u32_e32 vcc_lo, 0, v0
	s_or_b32 s1, vcc_lo, s1
	s_wait_loadcnt 0x0
	v_lshrrev_b32_e32 v2, 1, v1
	v_bitop3_b32 v2, v2, 0x55555555, v1 bitop3:0xc8
	s_delay_alu instid0(VALU_DEP_1) | instskip(NEXT) | instid1(VALU_DEP_1)
	v_lshl_add_u32 v2, v2, 1, v2
	v_xor_b32_e32 v1, v2, v1
	scratch_store_b32 v94, v1, off
	s_wait_xcnt 0x0
	v_add_nc_u32_e32 v94, 4, v94
	s_and_not1_b32 exec_lo, exec_lo, s1
	s_cbranch_execnz .LBB8_346
; %bb.347:
	s_or_b32 exec_lo, exec_lo, s1
	scratch_store_b32 off, v44, off offset:4
.LBB8_348:
	v_writelane_b32 v46, s39, 16
	v_writelane_b32 v46, s38, 17
	;; [unrolled: 1-line block ×5, first 2 shown]
	s_wait_xcnt 0x0
	s_or_b32 exec_lo, exec_lo, s0
	v_dual_mov_b32 v94, 0 :: v_dual_lshlrev_b32 v2, 1, v41
	s_get_pc_i64 s[0:1]
	s_add_nc_u64 s[0:1], s[0:1], _ZN3sop12sopFactorRecEPNS_3SopEiP7VecsMemIjLi8192EEPN8subgUtil4SubgILi256EEE@rel64+4
	s_mov_b64 s[8:9], s[82:83]
	s_mov_b32 s85, s24
	v_add_nc_u64_e32 v[0:1], src_flat_scratch_base_lo, v[94:95]
	v_dual_mov_b32 v94, 0x8018 :: v_dual_mov_b32 v3, v104
	s_delay_alu instid0(VALU_DEP_1) | instskip(NEXT) | instid1(VALU_DEP_1)
	v_add_nc_u64_e32 v[6:7], src_flat_scratch_base_lo, v[94:95]
	v_dual_mov_b32 v4, v105 :: v_dual_mov_b32 v5, v6
	s_delay_alu instid0(VALU_DEP_2) | instskip(SKIP_4) | instid1(VALU_DEP_1)
	v_mov_b32_e32 v6, v7
	s_swap_pc_i64 s[30:31], s[0:1]
	v_ashrrev_i32_e32 v2, 1, v0
	s_mov_b32 s17, s101
	s_mov_b32 s18, s103
	v_cmp_ge_i32_e32 vcc_lo, v2, v41
	s_and_saveexec_b32 s0, vcc_lo
	v_readlane_b32 s36, v46, 0
	v_readlane_b32 s38, v46, 2
	;; [unrolled: 1-line block ×17, first 2 shown]
	s_xor_b32 s19, exec_lo, s0
	s_mov_b32 s24, s85
	v_readlane_b32 s48, v46, 12
	v_readlane_b32 s49, v46, 13
	;; [unrolled: 1-line block ×4, first 2 shown]
	s_cbranch_execz .LBB8_356
; %bb.349:
	s_mov_b32 s0, -1
	s_mov_b32 s1, s103
	s_and_saveexec_b32 s17, s84
	s_cbranch_execz .LBB8_355
; %bb.350:
	scratch_load_b32 v2, off, off offset:32792
	s_mov_b32 s18, 0
	s_wait_loadcnt 0x0
	scratch_load_b64 v[0:1], v2, off offset:32792 scale_offset
	s_wait_loadcnt 0x0
	v_lshrrev_b32_e32 v3, 1, v0
	v_cmp_lt_i64_e32 vcc_lo, -1, v[0:1]
	s_delay_alu instid0(VALU_DEP_2) | instskip(SKIP_3) | instid1(SALU_CYCLE_1)
	v_cmp_ge_i32_e64 s0, v3, v1
	s_and_b32 s0, vcc_lo, s0
	s_wait_xcnt 0x0
	s_and_saveexec_b32 s1, s0
	s_xor_b32 s0, exec_lo, s1
	s_cbranch_execz .LBB8_352
; %bb.351:
	v_lshl_add_u32 v2, v2, 3, 0x8018
	v_xor_b32_e32 v0, 1, v0
	s_mov_b32 s18, exec_lo
	scratch_store_b64 v2, v[0:1], off
.LBB8_352:
	s_wait_xcnt 0x0
	s_or_saveexec_b32 s20, s0
	s_mov_b32 s0, s103
	s_xor_b32 exec_lo, exec_lo, s20
	s_cbranch_execz .LBB8_354
; %bb.353:
	s_get_pc_i64 s[0:1]
	s_add_nc_u64 s[0:1], s[0:1], .str.46@rel64+4
	s_get_pc_i64 s[2:3]
	s_add_nc_u64 s[2:3], s[2:3], .str.44@rel64+4
	s_get_pc_i64 s[4:5]
	s_add_nc_u64 s[4:5], s[4:5], __PRETTY_FUNCTION__._ZN8subgUtil18formAndNodeKeyFlagEiii@rel64+4
	v_dual_mov_b32 v0, s0 :: v_dual_mov_b32 v1, s1
	v_dual_mov_b32 v2, s2 :: v_dual_mov_b32 v3, s3
	;; [unrolled: 1-line block ×3, first 2 shown]
	v_mov_b32_e32 v6, s5
	s_mov_b64 s[8:9], s[82:83]
	s_swap_pc_i64 s[30:31], s[86:87]
	s_or_b32 s0, s103, exec_lo
.LBB8_354:
	s_or_b32 exec_lo, exec_lo, s20
	s_delay_alu instid0(SALU_CYCLE_1) | instskip(SKIP_1) | instid1(SALU_CYCLE_1)
	s_and_not1_b32 s1, s103, exec_lo
	s_and_b32 s0, s0, exec_lo
	s_or_b32 s1, s1, s0
	s_or_not1_b32 s0, s18, exec_lo
.LBB8_355:
	s_or_b32 exec_lo, exec_lo, s17
	s_delay_alu instid0(SALU_CYCLE_1)
	s_and_not1_b32 s2, s103, exec_lo
	s_and_b32 s1, s1, exec_lo
	s_and_not1_b32 s3, s101, exec_lo
	s_and_b32 s0, s0, exec_lo
	s_or_b32 s18, s2, s1
	s_or_b32 s17, s3, s0
                                        ; implicit-def: $vgpr2
                                        ; implicit-def: $vgpr0
.LBB8_356:
	s_and_not1_saveexec_b32 s19, s19
	s_cbranch_execz .LBB8_366
; %bb.357:
	scratch_load_b32 v1, off, off offset:32792
	s_mov_b32 s20, s18
	s_mov_b32 s0, exec_lo
	s_wait_loadcnt 0x0
	v_cmpx_ne_u32_e64 v1, v41
	s_xor_b32 s21, exec_lo, s0
	s_cbranch_execz .LBB8_359
; %bb.358:
	s_get_pc_i64 s[0:1]
	s_add_nc_u64 s[0:1], s[0:1], .str.32@rel64+4
	s_get_pc_i64 s[2:3]
	s_add_nc_u64 s[2:3], s[2:3], .str.31@rel64+4
	s_get_pc_i64 s[4:5]
	s_add_nc_u64 s[4:5], s[4:5], __PRETTY_FUNCTION__._ZN3sop9sopFactorEPjiiPKiiP7VecsMemIjLi8192EEPN8subgUtil4SubgILi256EEE@rel64+4
	v_dual_mov_b32 v0, s0 :: v_dual_mov_b32 v1, s1
	v_dual_mov_b32 v2, s2 :: v_dual_mov_b32 v3, s3
	;; [unrolled: 1-line block ×3, first 2 shown]
	v_mov_b32_e32 v6, s5
	s_mov_b64 s[8:9], s[82:83]
	s_swap_pc_i64 s[30:31], s[86:87]
	s_or_b32 s20, s18, exec_lo
                                        ; implicit-def: $vgpr2
                                        ; implicit-def: $vgpr0
.LBB8_359:
	s_or_saveexec_b32 s21, s21
	s_mov_b32 s0, s17
	s_xor_b32 exec_lo, exec_lo, s21
	s_cbranch_execz .LBB8_365
; %bb.360:
	v_ashrrev_i32_e32 v79, 31, v78
	v_ashrrev_i32_e32 v3, 31, v2
	s_mov_b32 s22, s17
	s_mov_b32 s0, exec_lo
	s_delay_alu instid0(VALU_DEP_2) | instskip(NEXT) | instid1(VALU_DEP_1)
	v_lshl_add_u64 v[4:5], v[78:79], 2, s[36:37]
	v_lshl_add_u64 v[2:3], v[2:3], 2, v[4:5]
	global_load_b32 v1, v[2:3], off
	s_wait_loadcnt 0x0
	v_lshlrev_b32_e32 v1, 1, v1
	s_wait_xcnt 0x0
	s_delay_alu instid0(VALU_DEP_1)
	v_cmpx_lt_i32_e32 -1, v1
	s_xor_b32 s0, exec_lo, s0
	s_cbranch_execz .LBB8_362
; %bb.361:
	v_dual_add_nc_u32 v2, 1, v41 :: v_dual_bitop2_b32 v0, 1, v0 bitop3:0x40
	s_or_b32 s22, s17, exec_lo
	s_delay_alu instid0(VALU_DEP_1) | instskip(SKIP_1) | instid1(SALU_CYCLE_1)
	v_cmp_eq_u32_e32 vcc_lo, 1, v0
	s_xor_b32 s1, s84, vcc_lo
	v_cndmask_b32_e64 v0, 0, 1, s1
	s_delay_alu instid0(VALU_DEP_1) | instskip(NEXT) | instid1(VALU_DEP_1)
	v_or_b32_e32 v1, v1, v0
	v_lshl_or_b32 v0, v1, 1, v0
	scratch_store_b32 off, v2, off offset:32792
	scratch_store_b64 v41, v[0:1], off offset:32800 scale_offset
.LBB8_362:
	s_wait_xcnt 0x0
	s_or_saveexec_b32 s23, s0
	s_mov_b32 s0, s20
	s_xor_b32 exec_lo, exec_lo, s23
	s_cbranch_execz .LBB8_364
; %bb.363:
	s_get_pc_i64 s[0:1]
	s_add_nc_u64 s[0:1], s[0:1], .str.46@rel64+4
	s_get_pc_i64 s[2:3]
	s_add_nc_u64 s[2:3], s[2:3], .str.44@rel64+4
	s_get_pc_i64 s[4:5]
	s_add_nc_u64 s[4:5], s[4:5], __PRETTY_FUNCTION__._ZN8subgUtil18formAndNodeKeyFlagEiii@rel64+4
	v_dual_mov_b32 v0, s0 :: v_dual_mov_b32 v1, s1
	v_dual_mov_b32 v2, s2 :: v_dual_mov_b32 v3, s3
	;; [unrolled: 1-line block ×3, first 2 shown]
	v_mov_b32_e32 v6, s5
	s_mov_b64 s[8:9], s[82:83]
	s_swap_pc_i64 s[30:31], s[86:87]
	s_or_b32 s0, s20, exec_lo
.LBB8_364:
	s_or_b32 exec_lo, exec_lo, s23
	s_delay_alu instid0(SALU_CYCLE_1)
	s_and_not1_b32 s1, s20, exec_lo
	s_and_b32 s0, s0, exec_lo
	s_and_not1_b32 s2, s17, exec_lo
	s_and_b32 s3, s22, exec_lo
	s_or_b32 s20, s1, s0
	s_or_b32 s0, s2, s3
.LBB8_365:
	s_or_b32 exec_lo, exec_lo, s21
	s_delay_alu instid0(SALU_CYCLE_1)
	s_and_not1_b32 s1, s18, exec_lo
	s_and_b32 s2, s20, exec_lo
	s_and_not1_b32 s3, s17, exec_lo
	s_and_b32 s0, s0, exec_lo
	s_or_b32 s18, s1, s2
	s_or_b32 s17, s3, s0
.LBB8_366:
	s_or_b32 exec_lo, exec_lo, s19
	s_delay_alu instid0(SALU_CYCLE_1)
	s_and_not1_b32 s0, s103, exec_lo
	s_and_b32 s1, s18, exec_lo
	s_and_not1_b32 s2, s101, exec_lo
	s_and_b32 s3, s17, exec_lo
	s_or_b32 s103, s0, s1
	s_or_b32 s1, s2, s3
.LBB8_367:
	s_or_b32 exec_lo, exec_lo, s39
	s_delay_alu instid0(SALU_CYCLE_1)
	s_and_not1_b32 s0, s24, exec_lo
	s_and_b32 s2, s103, exec_lo
	s_and_not1_b32 s3, s101, exec_lo
	s_and_b32 s1, s1, exec_lo
	s_or_b32 s17, s0, s2
	s_or_b32 s101, s3, s1
	s_and_not1_b32 s29, s29, exec_lo
	s_or_b32 exec_lo, exec_lo, s38
	s_and_saveexec_b32 s0, s29
	s_cbranch_execz .LBB8_373
.LBB8_368:
	v_add_nc_u32_e32 v1, 1, v41
	v_lshl_add_u32 v0, v41, 3, 0x8018
	scratch_store_b32 off, v1, off offset:32792
	s_wait_xcnt 0x0
	s_and_saveexec_b32 s1, s100
	s_delay_alu instid0(SALU_CYCLE_1)
	s_xor_b32 s1, exec_lo, s1
	s_cbranch_execz .LBB8_370
; %bb.369:
	v_mov_b64_e32 v[2:3], 0x100000003
	scratch_store_b64 v0, v[2:3], off offset:8
                                        ; implicit-def: $vgpr0
.LBB8_370:
	s_wait_xcnt 0x0
	s_and_not1_saveexec_b32 s1, s1
	s_cbranch_execz .LBB8_372
; %bb.371:
	v_mov_b64_e32 v[2:3], 0
	scratch_store_b64 v0, v[2:3], off offset:8
.LBB8_372:
	s_wait_xcnt 0x0
	s_or_b32 exec_lo, exec_lo, s1
	s_delay_alu instid0(SALU_CYCLE_1)
	s_or_b32 s101, s101, exec_lo
.LBB8_373:
	s_or_b32 exec_lo, exec_lo, s0
	s_mov_b32 s0, 0
	s_mov_b32 s1, 0
	;; [unrolled: 1-line block ×3, first 2 shown]
	s_and_saveexec_b32 s18, s101
	s_cbranch_execz .LBB8_401
; %bb.374:
	s_wait_storecnt 0x0
	s_barrier_signal -1
	s_barrier_wait -1
	scratch_load_b32 v4, off, off offset:32792
	v_cndmask_b32_e64 v0, 0, 1, s84
	s_mov_b32 s19, s17
	s_mov_b32 s0, exec_lo
	s_delay_alu instid0(VALU_DEP_1)
	v_lshl_or_b32 v0, v92, 1, v0
	s_wait_loadcnt 0x0
	v_sub_nc_u32_e32 v1, v4, v41
	global_store_b32 v0, v1, s[44:45] scale_offset
	s_wait_xcnt 0x0
	v_cmpx_gt_i32_e32 1, v1
	s_xor_b32 s20, exec_lo, s0
	s_cbranch_execz .LBB8_376
; %bb.375:
	s_get_pc_i64 s[0:1]
	s_add_nc_u64 s[0:1], s[0:1], .str.13@rel64+4
	s_get_pc_i64 s[2:3]
	s_add_nc_u64 s[2:3], s[2:3], .str.1@rel64+4
	s_get_pc_i64 s[4:5]
	s_add_nc_u64 s[4:5], s[4:5], __PRETTY_FUNCTION__._Z15factorFromTruthPKiS0_PyPiS2_S2_PKjS4_S0_S4_i@rel64+4
	v_dual_mov_b32 v0, s0 :: v_dual_mov_b32 v1, s1
	v_dual_mov_b32 v2, s2 :: v_dual_mov_b32 v3, s3
	;; [unrolled: 1-line block ×3, first 2 shown]
	v_mov_b32_e32 v6, s5
	s_mov_b64 s[8:9], s[82:83]
	s_swap_pc_i64 s[30:31], s[86:87]
	s_or_b32 s19, s17, exec_lo
                                        ; implicit-def: $vgpr0
                                        ; implicit-def: $vgpr4
                                        ; implicit-def: $vgpr41
                                        ; implicit-def: $vgpr42
                                        ; implicit-def: $vgpr78
.LBB8_376:
	s_or_saveexec_b32 s20, s20
	s_mov_b32 s0, 0
	s_mov_b32 s1, 0
	s_mov_b32 s4, 0
	s_xor_b32 exec_lo, exec_lo, s20
	s_cbranch_execz .LBB8_400
; %bb.377:
	v_ashrrev_i32_e32 v1, 31, v0
	s_mov_b32 s0, s19
	s_mov_b32 s1, exec_lo
	s_delay_alu instid0(VALU_DEP_1)
	v_lshl_add_u64 v[2:3], v[0:1], 2, s[42:43]
	global_load_b32 v1, v[2:3], off
	s_wait_loadcnt 0x0
	v_cmpx_ne_u32_e32 -1, v1
	s_xor_b32 s21, exec_lo, s1
	s_cbranch_execz .LBB8_379
; %bb.378:
	s_get_pc_i64 s[0:1]
	s_add_nc_u64 s[0:1], s[0:1], .str.11@rel64+4
	s_get_pc_i64 s[2:3]
	s_add_nc_u64 s[2:3], s[2:3], .str.1@rel64+4
	s_get_pc_i64 s[4:5]
	s_add_nc_u64 s[4:5], s[4:5], __PRETTY_FUNCTION__._Z15factorFromTruthPKiS0_PyPiS2_S2_PKjS4_S0_S4_i@rel64+4
	v_dual_mov_b32 v0, s0 :: v_dual_mov_b32 v1, s1
	v_dual_mov_b32 v2, s2 :: v_dual_mov_b32 v3, s3
	v_dual_mov_b32 v4, 0x120 :: v_dual_mov_b32 v5, s4
	v_mov_b32_e32 v6, s5
	s_mov_b64 s[8:9], s[82:83]
	s_swap_pc_i64 s[30:31], s[86:87]
	s_or_b32 s0, s19, exec_lo
                                        ; implicit-def: $vgpr2_vgpr3
                                        ; implicit-def: $vgpr4
                                        ; implicit-def: $vgpr41
                                        ; implicit-def: $vgpr0
                                        ; implicit-def: $vgpr42
                                        ; implicit-def: $vgpr78
.LBB8_379:
	s_or_saveexec_b32 s1, s21
	s_mov_b32 s2, 0
	s_mov_b32 s3, 0
	;; [unrolled: 1-line block ×3, first 2 shown]
	s_xor_b32 exec_lo, exec_lo, s1
	s_cbranch_execz .LBB8_399
; %bb.380:
	v_mov_b32_e32 v1, 0
	s_mov_b32 s6, -1
	s_mov_b32 s4, 0
	s_mov_b32 s3, exec_lo
	global_store_b32 v[2:3], v1, off
	s_wait_xcnt 0x0
	v_cmpx_gt_i32_e64 v4, v41
	s_cbranch_execz .LBB8_396
; %bb.381:
	v_lshlrev_b32_e32 v2, 3, v42
	v_lshlrev_b32_e32 v3, 3, v78
	s_lshl_b32 s7, s99, 2
	s_mov_b32 s6, 0
	s_add_co_i32 s7, s7, -1
                                        ; implicit-def: $sgpr5
                                        ; implicit-def: $sgpr4
	s_delay_alu instid0(VALU_DEP_1) | instskip(NEXT) | instid1(VALU_DEP_1)
	v_dual_mov_b32 v3, 0 :: v_dual_sub_nc_u32 v2, v2, v3
	v_add3_u32 v5, 0x8018, v2, 8
	s_branch .LBB8_383
.LBB8_382:                              ;   in Loop: Header=BB8_383 Depth=1
	s_wait_xcnt 0x0
	s_or_b32 exec_lo, exec_lo, s10
	s_xor_b32 s9, s9, -1
	s_xor_b32 s8, s8, -1
	s_and_b32 s10, exec_lo, s12
	s_delay_alu instid0(SALU_CYCLE_1)
	s_or_b32 s6, s10, s6
	s_and_not1_b32 s4, s4, exec_lo
	s_and_b32 s9, s9, exec_lo
	s_and_not1_b32 s5, s5, exec_lo
	s_and_b32 s8, s8, exec_lo
	s_or_b32 s4, s4, s9
	s_or_b32 s5, s5, s8
	s_and_not1_b32 exec_lo, exec_lo, s6
	s_cbranch_execz .LBB8_393
.LBB8_383:                              ; =>This Inner Loop Header: Depth=1
	s_mov_b32 s11, -1
	s_mov_b32 s10, exec_lo
                                        ; implicit-def: $sgpr8
                                        ; implicit-def: $sgpr9
	v_cmpx_eq_u32_e32 8, v3
	s_cbranch_execz .LBB8_391
; %bb.384:                              ;   in Loop: Header=BB8_383 Depth=1
	s_mov_b32 s9, exec_lo
	s_mov_b32 s8, exec_lo
	v_mbcnt_lo_u32_b32 v2, s9, 0
                                        ; implicit-def: $vgpr3
	s_delay_alu instid0(VALU_DEP_1)
	v_cmpx_eq_u32_e32 0, v2
	s_cbranch_execz .LBB8_386
; %bb.385:                              ;   in Loop: Header=BB8_383 Depth=1
	s_bcnt1_i32_b32 s9, s9
	s_delay_alu instid0(SALU_CYCLE_1)
	v_mov_b32_e32 v3, s9
	global_atomic_add_u32 v3, v1, v3, s[46:47] th:TH_ATOMIC_RETURN scope:SCOPE_DEV
.LBB8_386:                              ;   in Loop: Header=BB8_383 Depth=1
	s_wait_xcnt 0x0
	s_or_b32 exec_lo, exec_lo, s8
	s_wait_loadcnt 0x0
	v_readfirstlane_b32 s8, v3
	s_mov_b32 s12, 0
	s_mov_b32 s9, 0
	s_mov_b32 s11, exec_lo
	v_add_nc_u32_e32 v2, s8, v2
	s_mov_b32 s8, -1
	s_delay_alu instid0(VALU_DEP_1)
	v_cmpx_gt_i32_e64 s7, v2
	s_cbranch_execz .LBB8_390
; %bb.387:                              ;   in Loop: Header=BB8_383 Depth=1
	global_load_b32 v3, v2, s[42:43] scale_offset
	s_mov_b32 s8, exec_lo
	s_wait_loadcnt 0x0
	v_cmpx_eq_u32_e32 -1, v3
	s_cbranch_execz .LBB8_389
; %bb.388:                              ;   in Loop: Header=BB8_383 Depth=1
	v_ashrrev_i32_e32 v3, 31, v2
	s_mov_b32 s12, exec_lo
	s_delay_alu instid0(VALU_DEP_1)
	v_lshl_add_u64 v[6:7], v[2:3], 2, s[42:43]
	s_clause 0x1
	global_store_b32 v0, v2, s[42:43] scale_offset
	global_store_b32 v[6:7], v1, off
.LBB8_389:                              ;   in Loop: Header=BB8_383 Depth=1
	s_wait_xcnt 0x0
	s_or_b32 exec_lo, exec_lo, s8
	s_delay_alu instid0(SALU_CYCLE_1)
	s_mov_b32 s9, exec_lo
	s_xor_b32 s8, exec_lo, -1
	s_and_b32 s12, s12, exec_lo
.LBB8_390:                              ;   in Loop: Header=BB8_383 Depth=1
	s_or_b32 exec_lo, exec_lo, s11
	v_dual_mov_b32 v3, 0 :: v_dual_mov_b32 v0, v2
	s_or_not1_b32 s11, s12, exec_lo
.LBB8_391:                              ;   in Loop: Header=BB8_383 Depth=1
	s_or_b32 exec_lo, exec_lo, s10
	s_mov_b32 s12, -1
	s_and_saveexec_b32 s10, s11
	s_cbranch_execz .LBB8_382
; %bb.392:                              ;   in Loop: Header=BB8_383 Depth=1
	scratch_load_b64 v[6:7], v5, off
	v_dual_add_nc_u32 v41, 1, v41 :: v_dual_add_nc_u32 v2, 1, v3
	v_lshl_add_u32 v8, v0, 3, v3
	s_wait_xcnt 0x0
	v_add_nc_u32_e32 v5, 8, v5
	s_and_not1_b32 s9, s9, exec_lo
	v_cmp_ge_i32_e32 vcc_lo, v41, v4
	v_mov_b32_e32 v3, v2
	s_and_not1_b32 s8, s8, exec_lo
	s_or_not1_b32 s12, vcc_lo, exec_lo
	s_wait_loadcnt 0x0
	global_store_b64 v8, v[6:7], s[40:41] scale_offset
	s_branch .LBB8_382
.LBB8_393:
	s_or_b32 exec_lo, exec_lo, s6
	s_mov_b32 s6, 0
	s_mov_b32 s8, -1
	s_mov_b32 s7, 0
	s_and_saveexec_b32 s9, s5
	s_delay_alu instid0(SALU_CYCLE_1)
	s_xor_b32 s5, exec_lo, s9
; %bb.394:
	s_mov_b32 s7, exec_lo
	s_xor_b32 s8, exec_lo, -1
	s_and_b32 s6, s4, exec_lo
; %bb.395:
	s_or_b32 exec_lo, exec_lo, s5
	s_delay_alu instid0(SALU_CYCLE_1)
	s_and_b32 s5, s8, exec_lo
	s_and_b32 s4, s7, exec_lo
	s_or_not1_b32 s6, s6, exec_lo
.LBB8_396:
	s_or_b32 exec_lo, exec_lo, s3
	s_and_saveexec_b32 s3, s6
	s_cbranch_execz .LBB8_398
; %bb.397:
	s_mov_b32 s2, exec_lo
	s_and_not1_b32 s4, s4, exec_lo
	s_wait_storecnt 0x0
	s_barrier_signal -1
	s_barrier_wait -1
.LBB8_398:
	s_or_b32 exec_lo, exec_lo, s3
	s_delay_alu instid0(SALU_CYCLE_1)
	s_and_b32 s5, s5, exec_lo
	s_and_b32 s3, s4, exec_lo
	;; [unrolled: 1-line block ×3, first 2 shown]
.LBB8_399:
	s_or_b32 exec_lo, exec_lo, s1
	s_delay_alu instid0(SALU_CYCLE_1)
	s_and_not1_b32 s1, s19, exec_lo
	s_and_b32 s0, s0, exec_lo
	s_and_b32 s4, s5, exec_lo
	s_or_b32 s19, s1, s0
	s_and_b32 s1, s3, exec_lo
	s_and_b32 s0, s2, exec_lo
.LBB8_400:
	s_or_b32 exec_lo, exec_lo, s20
	s_delay_alu instid0(SALU_CYCLE_1)
	s_and_not1_b32 s2, s17, exec_lo
	s_and_b32 s3, s19, exec_lo
	s_and_b32 s1, s1, exec_lo
	s_or_b32 s17, s2, s3
	s_and_b32 s2, s4, exec_lo
	s_and_b32 s0, s0, exec_lo
.LBB8_401:
	s_or_b32 exec_lo, exec_lo, s18
	s_delay_alu instid0(SALU_CYCLE_1)
	s_and_not1_b32 s3, s24, exec_lo
	s_and_b32 s4, s17, exec_lo
	s_and_b32 s2, s2, exec_lo
	s_or_b32 s24, s3, s4
	s_and_b32 s1, s1, exec_lo
	s_and_b32 s0, s0, exec_lo
.LBB8_402:
	s_or_b32 exec_lo, exec_lo, s102
	s_delay_alu instid0(SALU_CYCLE_1)
	s_and_not1_b32 s3, s34, exec_lo
	s_and_b32 s4, s24, exec_lo
	s_and_not1_b32 s104, s104, exec_lo
	s_or_b32 s34, s3, s4
	s_and_b32 s3, s2, exec_lo
	s_and_b32 s2, s1, exec_lo
	;; [unrolled: 1-line block ×3, first 2 shown]
.LBB8_403:
	s_or_b32 exec_lo, exec_lo, s81
	s_delay_alu instid0(SALU_CYCLE_1)
	s_and_not1_b32 s0, s80, exec_lo
	s_and_b32 s4, s34, exec_lo
	s_and_b32 s3, s3, exec_lo
	s_or_b32 s80, s0, s4
	s_and_b32 s4, s104, exec_lo
	s_and_b32 s2, s2, exec_lo
	;; [unrolled: 1-line block ×3, first 2 shown]
.LBB8_404:
	s_or_b32 exec_lo, exec_lo, s28
	s_delay_alu instid0(SALU_CYCLE_1)
	s_and_not1_b32 s1, s97, exec_lo
	s_and_b32 s5, s80, exec_lo
	s_and_b32 s4, s4, exec_lo
	s_or_b32 s97, s1, s5
	s_and_b32 s3, s3, exec_lo
	s_and_b32 s1, s2, exec_lo
	;; [unrolled: 1-line block ×3, first 2 shown]
.LBB8_405:
	s_or_b32 exec_lo, exec_lo, s98
	s_delay_alu instid0(SALU_CYCLE_1)
	s_and_b32 s17, s97, exec_lo
	s_and_b32 s18, s4, exec_lo
	;; [unrolled: 1-line block ×4, first 2 shown]
	s_or_not1_b32 s3, s19, exec_lo
.LBB8_406:
	s_or_b32 exec_lo, exec_lo, s96
	s_and_saveexec_b32 s0, s3
	s_delay_alu instid0(SALU_CYCLE_1) | instskip(SKIP_1) | instid1(SALU_CYCLE_1)
	s_or_b32 exec_lo, exec_lo, s0
	s_and_saveexec_b32 s0, s2
	s_xor_b32 s19, exec_lo, s0
	s_cbranch_execnz .LBB8_411
; %bb.407:
	s_or_b32 exec_lo, exec_lo, s19
	s_and_saveexec_b32 s0, s20
	s_delay_alu instid0(SALU_CYCLE_1)
	s_xor_b32 s19, exec_lo, s0
	s_cbranch_execnz .LBB8_412
.LBB8_408:
	s_or_b32 exec_lo, exec_lo, s19
	s_and_saveexec_b32 s19, s18
	s_cbranch_execnz .LBB8_413
.LBB8_409:
	s_or_b32 exec_lo, exec_lo, s19
	s_and_saveexec_b32 s0, s17
	s_cbranch_execnz .LBB8_414
.LBB8_410:
	s_endpgm
.LBB8_411:
	s_get_pc_i64 s[0:1]
	s_add_nc_u64 s[0:1], s[0:1], .str.11@rel64+4
	s_get_pc_i64 s[2:3]
	s_add_nc_u64 s[2:3], s[2:3], .str.1@rel64+4
	s_get_pc_i64 s[4:5]
	s_add_nc_u64 s[4:5], s[4:5], __PRETTY_FUNCTION__._Z15factorFromTruthPKiS0_PyPiS2_S2_PKjS4_S0_S4_i@rel64+4
	v_dual_mov_b32 v0, s0 :: v_dual_mov_b32 v1, s1
	v_dual_mov_b32 v2, s2 :: v_dual_mov_b32 v3, s3
	;; [unrolled: 1-line block ×3, first 2 shown]
	v_mov_b32_e32 v6, s5
	s_mov_b64 s[8:9], s[82:83]
	s_swap_pc_i64 s[30:31], s[86:87]
	s_or_b32 s17, s17, exec_lo
	s_or_b32 exec_lo, exec_lo, s19
	s_and_saveexec_b32 s0, s20
	s_delay_alu instid0(SALU_CYCLE_1)
	s_xor_b32 s19, exec_lo, s0
	s_cbranch_execz .LBB8_408
.LBB8_412:
	s_get_pc_i64 s[0:1]
	s_add_nc_u64 s[0:1], s[0:1], .str.14@rel64+4
	s_get_pc_i64 s[2:3]
	s_add_nc_u64 s[2:3], s[2:3], .str.1@rel64+4
	s_get_pc_i64 s[4:5]
	s_add_nc_u64 s[4:5], s[4:5], __PRETTY_FUNCTION__._Z15factorFromTruthPKiS0_PyPiS2_S2_PKjS4_S0_S4_i@rel64+4
	v_dual_mov_b32 v0, s0 :: v_dual_mov_b32 v1, s1
	v_dual_mov_b32 v2, s2 :: v_dual_mov_b32 v3, s3
	;; [unrolled: 1-line block ×3, first 2 shown]
	v_mov_b32_e32 v6, s5
	s_mov_b64 s[8:9], s[82:83]
	s_swap_pc_i64 s[30:31], s[86:87]
	s_or_b32 s17, s17, exec_lo
	s_or_b32 exec_lo, exec_lo, s19
	s_and_saveexec_b32 s19, s18
	s_cbranch_execz .LBB8_409
.LBB8_413:
	s_get_pc_i64 s[0:1]
	s_add_nc_u64 s[0:1], s[0:1], .str.18@rel64+4
	s_get_pc_i64 s[2:3]
	s_add_nc_u64 s[2:3], s[2:3], .str.19@rel64+4
	s_get_pc_i64 s[4:5]
	s_add_nc_u64 s[4:5], s[4:5], __PRETTY_FUNCTION__._ZN7VecsMemIjLi8192EE6shrinkEi@rel64+4
	v_dual_mov_b32 v0, s0 :: v_dual_mov_b32 v1, s1
	v_dual_mov_b32 v2, s2 :: v_dual_mov_b32 v3, s3
	;; [unrolled: 1-line block ×3, first 2 shown]
	v_mov_b32_e32 v6, s5
	s_mov_b64 s[8:9], s[82:83]
	s_swap_pc_i64 s[30:31], s[86:87]
	s_or_b32 s17, s17, exec_lo
	s_or_b32 exec_lo, exec_lo, s19
	s_and_saveexec_b32 s0, s17
	s_cbranch_execz .LBB8_410
.LBB8_414:
	; divergent unreachable
	s_endpgm
	.section	.rodata,"a",@progbits
	.p2align	6, 0x0
	.amdhsa_kernel _Z15factorFromTruthPKiS0_PyPiS2_S2_PKjS4_S0_S4_i
		.amdhsa_group_segment_fixed_size 0
		.amdhsa_private_segment_fixed_size 35216
		.amdhsa_kernarg_size 344
		.amdhsa_user_sgpr_count 2
		.amdhsa_user_sgpr_dispatch_ptr 0
		.amdhsa_user_sgpr_queue_ptr 0
		.amdhsa_user_sgpr_kernarg_segment_ptr 1
		.amdhsa_user_sgpr_dispatch_id 0
		.amdhsa_user_sgpr_kernarg_preload_length 0
		.amdhsa_user_sgpr_kernarg_preload_offset 0
		.amdhsa_user_sgpr_private_segment_size 0
		.amdhsa_wavefront_size32 1
		.amdhsa_uses_dynamic_stack 1
		.amdhsa_enable_private_segment 1
		.amdhsa_system_sgpr_workgroup_id_x 1
		.amdhsa_system_sgpr_workgroup_id_y 0
		.amdhsa_system_sgpr_workgroup_id_z 0
		.amdhsa_system_sgpr_workgroup_info 0
		.amdhsa_system_vgpr_workitem_id 0
		.amdhsa_next_free_vgpr 108
		.amdhsa_next_free_sgpr 105
		.amdhsa_named_barrier_count 0
		.amdhsa_reserve_vcc 1
		.amdhsa_float_round_mode_32 0
		.amdhsa_float_round_mode_16_64 0
		.amdhsa_float_denorm_mode_32 3
		.amdhsa_float_denorm_mode_16_64 3
		.amdhsa_fp16_overflow 0
		.amdhsa_memory_ordered 1
		.amdhsa_forward_progress 1
		.amdhsa_inst_pref_size 134
		.amdhsa_round_robin_scheduling 0
		.amdhsa_exception_fp_ieee_invalid_op 0
		.amdhsa_exception_fp_denorm_src 0
		.amdhsa_exception_fp_ieee_div_zero 0
		.amdhsa_exception_fp_ieee_overflow 0
		.amdhsa_exception_fp_ieee_underflow 0
		.amdhsa_exception_fp_ieee_inexact 0
		.amdhsa_exception_int_div_zero 0
	.end_amdhsa_kernel
	.text
.Lfunc_end8:
	.size	_Z15factorFromTruthPKiS0_PyPiS2_S2_PKjS4_S0_S4_i, .Lfunc_end8-_Z15factorFromTruthPKiS0_PyPiS2_S2_PKjS4_S0_S4_i
                                        ; -- End function
	.set _Z15factorFromTruthPKiS0_PyPiS2_S2_PKjS4_S0_S4_i.num_vgpr, max(108, .L__assert_fail.num_vgpr, .L_ZN3sop13minatoIsopRecEPKjS1_iPNS_3SopEP7VecsMemIjLi8192EE.num_vgpr, .L_ZN3sop12sopFactorRecEPNS_3SopEiP7VecsMemIjLi8192EEPN8subgUtil4SubgILi256EEE.num_vgpr)
	.set _Z15factorFromTruthPKiS0_PyPiS2_S2_PKjS4_S0_S4_i.num_agpr, max(0, .L__assert_fail.num_agpr, .L_ZN3sop13minatoIsopRecEPKjS1_iPNS_3SopEP7VecsMemIjLi8192EE.num_agpr, .L_ZN3sop12sopFactorRecEPNS_3SopEiP7VecsMemIjLi8192EEPN8subgUtil4SubgILi256EEE.num_agpr)
	.set _Z15factorFromTruthPKiS0_PyPiS2_S2_PKjS4_S0_S4_i.numbered_sgpr, max(105, .L__assert_fail.numbered_sgpr, .L_ZN3sop13minatoIsopRecEPKjS1_iPNS_3SopEP7VecsMemIjLi8192EE.numbered_sgpr, .L_ZN3sop12sopFactorRecEPNS_3SopEiP7VecsMemIjLi8192EEPN8subgUtil4SubgILi256EEE.numbered_sgpr)
	.set _Z15factorFromTruthPKiS0_PyPiS2_S2_PKjS4_S0_S4_i.num_named_barrier, max(0, .L__assert_fail.num_named_barrier, .L_ZN3sop13minatoIsopRecEPKjS1_iPNS_3SopEP7VecsMemIjLi8192EE.num_named_barrier, .L_ZN3sop12sopFactorRecEPNS_3SopEiP7VecsMemIjLi8192EEPN8subgUtil4SubgILi256EEE.num_named_barrier)
	.set _Z15factorFromTruthPKiS0_PyPiS2_S2_PKjS4_S0_S4_i.private_seg_size, 34864+max(.L__assert_fail.private_seg_size, .L_ZN3sop13minatoIsopRecEPKjS1_iPNS_3SopEP7VecsMemIjLi8192EE.private_seg_size, .L_ZN3sop12sopFactorRecEPNS_3SopEiP7VecsMemIjLi8192EEPN8subgUtil4SubgILi256EEE.private_seg_size)
	.set _Z15factorFromTruthPKiS0_PyPiS2_S2_PKjS4_S0_S4_i.uses_vcc, or(1, .L__assert_fail.uses_vcc, .L_ZN3sop13minatoIsopRecEPKjS1_iPNS_3SopEP7VecsMemIjLi8192EE.uses_vcc, .L_ZN3sop12sopFactorRecEPNS_3SopEiP7VecsMemIjLi8192EEPN8subgUtil4SubgILi256EEE.uses_vcc)
	.set _Z15factorFromTruthPKiS0_PyPiS2_S2_PKjS4_S0_S4_i.uses_flat_scratch, or(0, .L__assert_fail.uses_flat_scratch, .L_ZN3sop13minatoIsopRecEPKjS1_iPNS_3SopEP7VecsMemIjLi8192EE.uses_flat_scratch, .L_ZN3sop12sopFactorRecEPNS_3SopEiP7VecsMemIjLi8192EEPN8subgUtil4SubgILi256EEE.uses_flat_scratch)
	.set _Z15factorFromTruthPKiS0_PyPiS2_S2_PKjS4_S0_S4_i.has_dyn_sized_stack, or(0, .L__assert_fail.has_dyn_sized_stack, .L_ZN3sop13minatoIsopRecEPKjS1_iPNS_3SopEP7VecsMemIjLi8192EE.has_dyn_sized_stack, .L_ZN3sop12sopFactorRecEPNS_3SopEiP7VecsMemIjLi8192EEPN8subgUtil4SubgILi256EEE.has_dyn_sized_stack)
	.set _Z15factorFromTruthPKiS0_PyPiS2_S2_PKjS4_S0_S4_i.has_recursion, or(1, .L__assert_fail.has_recursion, .L_ZN3sop13minatoIsopRecEPKjS1_iPNS_3SopEP7VecsMemIjLi8192EE.has_recursion, .L_ZN3sop12sopFactorRecEPNS_3SopEiP7VecsMemIjLi8192EEPN8subgUtil4SubgILi256EEE.has_recursion)
	.set _Z15factorFromTruthPKiS0_PyPiS2_S2_PKjS4_S0_S4_i.has_indirect_call, or(0, .L__assert_fail.has_indirect_call, .L_ZN3sop13minatoIsopRecEPKjS1_iPNS_3SopEP7VecsMemIjLi8192EE.has_indirect_call, .L_ZN3sop12sopFactorRecEPNS_3SopEiP7VecsMemIjLi8192EEPN8subgUtil4SubgILi256EEE.has_indirect_call)
	.section	.AMDGPU.csdata,"",@progbits
; Kernel info:
; codeLenInByte = 17028
; TotalNumSgprs: 107
; NumVgprs: 108
; ScratchSize: 35216
; MemoryBound: 0
; FloatMode: 240
; IeeeMode: 1
; LDSByteSize: 0 bytes/workgroup (compile time only)
; SGPRBlocks: 0
; VGPRBlocks: 6
; NumSGPRsForWavesPerEU: 107
; NumVGPRsForWavesPerEU: 108
; NamedBarCnt: 0
; Occupancy: 9
; WaveLimiterHint : 1
; COMPUTE_PGM_RSRC2:SCRATCH_EN: 1
; COMPUTE_PGM_RSRC2:USER_SGPR: 2
; COMPUTE_PGM_RSRC2:TRAP_HANDLER: 0
; COMPUTE_PGM_RSRC2:TGID_X_EN: 1
; COMPUTE_PGM_RSRC2:TGID_Y_EN: 0
; COMPUTE_PGM_RSRC2:TGID_Z_EN: 0
; COMPUTE_PGM_RSRC2:TIDIG_COMP_CNT: 0
	.text
	.p2alignl 7, 3214868480
	.fill 96, 4, 3214868480
	.section	.AMDGPU.gpr_maximums,"",@progbits
	.set amdgpu.max_num_vgpr, 91
	.set amdgpu.max_num_agpr, 0
	.set amdgpu.max_num_sgpr, 82
	.text
	.type	__const.__assert_fail.fmt,@object ; @__const.__assert_fail.fmt
	.section	.rodata.str1.16,"aMS",@progbits,1
	.p2align	4, 0x0
__const.__assert_fail.fmt:
	.asciz	"%s:%u: %s: Device-side assertion `%s' failed.\n"
	.size	__const.__assert_fail.fmt, 47

	.type	.str,@object                    ; @.str
	.section	.rodata.str1.1,"aMS",@progbits,1
.str:
	.asciz	"lit0 < lit1"
	.size	.str, 12

	.type	.str.1,@object                  ; @.str.1
.str.1:
	.asciz	"/root/src/amdgpu-assembly/repos/zjin-lcf__HeCBench/src/logic-rewrite-hip/refactor_core.cu"
	.size	.str.1, 90

	.type	__PRETTY_FUNCTION__._Z12evaluateSubgiPiPKiiiiS1_PKyPKjiPKN8subgUtil4SubgILi256EEE,@object ; @__PRETTY_FUNCTION__._Z12evaluateSubgiPiPKiiiiS1_PKyPKjiPKN8subgUtil4SubgILi256EEE
__PRETTY_FUNCTION__._Z12evaluateSubgiPiPKiiiiS1_PKyPKjiPKN8subgUtil4SubgILi256EEE:
	.asciz	"int evaluateSubg(int, int *, const int *, int, int, int, const int *, const uint64 *, const uint32 *, int, const subgUtil::Subg<SUBG_CAP> *)"
	.size	__PRETTY_FUNCTION__._Z12evaluateSubgiPiPKiiiiS1_PKyPKjiPKN8subgUtil4SubgILi256EEE, 141

	.type	.str.2,@object                  ; @.str.2
.str.2:
	.asciz	"id0 < i && id1 < i"
	.size	.str.2, 19

	.type	.str.7,@object                  ; @.str.7
.str.7:
	.asciz	"endIdx - startIdx == nWords"
	.size	.str.7, 28

	.type	__PRETTY_FUNCTION__._Z8resynCutPKiS0_S0_S0_PKyPKjiS0_PyPiS6_S6_PjS0_S4_ii,@object ; @__PRETTY_FUNCTION__._Z8resynCutPKiS0_S0_S0_PKyPKjiS0_PyPiS6_S6_PjS0_S4_ii
__PRETTY_FUNCTION__._Z8resynCutPKiS0_S0_S0_PKyPKjiS0_PyPiS6_S6_PjS0_S4_ii:
	.asciz	"void resynCut(const int *, const int *, const int *, const int *, const uint64 *, const uint32 *, int, const int *, uint64 *, int *, int *, int *, unsigned int *, const int *, const unsigned int *, int, int)"
	.size	__PRETTY_FUNCTION__._Z8resynCutPKiS0_S0_S0_PKyPKjiS0_PyPiS6_S6_PjS0_S4_ii, 208

	.type	.str.8,@object                  ; @.str.8
.str.8:
	.asciz	"vSubgLens[idx] > 0"
	.size	.str.8, 19

	.type	.str.9,@object                  ; @.str.9
.str.9:
	.asciz	"vSubgLinks[idx] == -1"
	.size	.str.9, 22

	.type	.str.10,@object                 ; @.str.10
.str.10:
	.asciz	"currRowIdx < 2 * nResyn - 1"
	.size	.str.10, 28

	.type	.str.11,@object                 ; @.str.11
.str.11:
	.asciz	"vSubgLinks[currRowIdx] == -1"
	.size	.str.11, 29

	.type	.str.12,@object                 ; @.str.12
.str.12:
	.asciz	"truthEndIdx - truthStartIdx == dUtils::TruthWordNum(nVars)"
	.size	.str.12, 59

	.type	__PRETTY_FUNCTION__._Z15factorFromTruthPKiS0_PyPiS2_S2_PKjS4_S0_S4_i,@object ; @__PRETTY_FUNCTION__._Z15factorFromTruthPKiS0_PyPiS2_S2_PKjS4_S0_S4_i
__PRETTY_FUNCTION__._Z15factorFromTruthPKiS0_PyPiS2_S2_PKjS4_S0_S4_i:
	.asciz	"void factorFromTruth(const int *, const int *, uint64 *, int *, int *, int *, const unsigned int *, const unsigned int *, const int *, const unsigned int *, int)"
	.size	__PRETTY_FUNCTION__._Z15factorFromTruthPKiS0_PyPiS2_S2_PKjS4_S0_S4_i, 162

	.type	.str.13,@object                 ; @.str.13
.str.13:
	.asciz	"vSubgLens[currRowIdx] > 0"
	.size	.str.13, 26

	.type	.str.14,@object                 ; @.str.14
.str.14:
	.asciz	"currRowIdx < 4 * nResyn - 1"
	.size	.str.14, 28

	.type	.str.15,@object                 ; @.str.15
.str.15:
	.asciz	"truthUtil::truthEqual(puTruth, pResult, nVars)"
	.size	.str.15, 47

	.type	.str.16,@object                 ; @.str.16
.str.16:
	.asciz	"/root/src/amdgpu-assembly/repos/zjin-lcf__HeCBench/src/logic-rewrite-hip/minato_isop.cuh"
	.size	.str.16, 89

	.type	__PRETTY_FUNCTION__._ZN3sop10minatoIsopEPKjiP7VecsMemIjLi8192EE,@object ; @__PRETTY_FUNCTION__._ZN3sop10minatoIsopEPKjiP7VecsMemIjLi8192EE
__PRETTY_FUNCTION__._ZN3sop10minatoIsopEPKjiP7VecsMemIjLi8192EE:
	.asciz	"void sop::minatoIsop(const unsigned int *, int, VecsMem<unsigned int, ISOP_FACTOR_MEM_CAP> *)"
	.size	__PRETTY_FUNCTION__._ZN3sop10minatoIsopEPKjiP7VecsMemIjLi8192EE, 94

	.type	.str.17,@object                 ; @.str.17
.str.17:
	.asciz	"pTemp != NULL"
	.size	.str.17, 14

	.type	.str.18,@object                 ; @.str.18
.str.18:
	.asciz	"nSize >= nSizeNew"
	.size	.str.18, 18

	.type	.str.19,@object                 ; @.str.19
.str.19:
	.asciz	"/root/src/amdgpu-assembly/repos/zjin-lcf__HeCBench/src/logic-rewrite-hip/vectors.cuh"
	.size	.str.19, 85

	.type	__PRETTY_FUNCTION__._ZN7VecsMemIjLi8192EE6shrinkEi,@object ; @__PRETTY_FUNCTION__._ZN7VecsMemIjLi8192EE6shrinkEi
__PRETTY_FUNCTION__._ZN7VecsMemIjLi8192EE6shrinkEi:
	.asciz	"void VecsMem<unsigned int, 8192>::shrink(int) [T = unsigned int, nCap = 8192]"
	.size	__PRETTY_FUNCTION__._ZN7VecsMemIjLi8192EE6shrinkEi, 78

	.type	__PRETTY_FUNCTION__._ZN3sop13minatoIsopRecEPKjS1_iPNS_3SopEP7VecsMemIjLi8192EE,@object ; @__PRETTY_FUNCTION__._ZN3sop13minatoIsopRecEPKjS1_iPNS_3SopEP7VecsMemIjLi8192EE
__PRETTY_FUNCTION__._ZN3sop13minatoIsopRecEPKjS1_iPNS_3SopEP7VecsMemIjLi8192EE:
	.asciz	"unsigned int *sop::minatoIsopRec(const unsigned int *, const unsigned int *, int, Sop *, VecsMem<unsigned int, ISOP_FACTOR_MEM_CAP> *)"
	.size	__PRETTY_FUNCTION__._ZN3sop13minatoIsopRecEPKjS1_iPNS_3SopEP7VecsMemIjLi8192EE, 135

	.type	.str.20,@object                 ; @.str.20
.str.20:
	.asciz	"pcRes->pCubes != NULL"
	.size	.str.20, 22

	.type	.str.21,@object                 ; @.str.21
.str.21:
	.asciz	"Var >= 0"
	.size	.str.21, 9

	.type	.str.23,@object                 ; @.str.23
.str.23:
	.asciz	"k == pcRes->nCubes"
	.size	.str.23, 19

	.type	__const._ZN3sop14minatoIsop5RecEjjiPNS_3SopEP7VecsMemIjLi8192EE.uMasks,@object ; @__const._ZN3sop14minatoIsop5RecEjjiPNS_3SopEP7VecsMemIjLi8192EE.uMasks
	.section	.rodata,"a",@progbits
	.p2align	4, 0x0
__const._ZN3sop14minatoIsop5RecEjjiPNS_3SopEP7VecsMemIjLi8192EE.uMasks:
	.long	2863311530                      ; 0xaaaaaaaa
	.long	3435973836                      ; 0xcccccccc
	;; [unrolled: 1-line block ×5, first 2 shown]
	.size	__const._ZN3sop14minatoIsop5RecEjjiPNS_3SopEP7VecsMemIjLi8192EE.uMasks, 20

	.type	__PRETTY_FUNCTION__._ZN3sop14minatoIsop5RecEjjiPNS_3SopEP7VecsMemIjLi8192EE,@object ; @__PRETTY_FUNCTION__._ZN3sop14minatoIsop5RecEjjiPNS_3SopEP7VecsMemIjLi8192EE
	.section	.rodata.str1.1,"aMS",@progbits,1
__PRETTY_FUNCTION__._ZN3sop14minatoIsop5RecEjjiPNS_3SopEP7VecsMemIjLi8192EE:
	.asciz	"unsigned int sop::minatoIsop5Rec(unsigned int, unsigned int, int, Sop *, VecsMem<unsigned int, ISOP_FACTOR_MEM_CAP> *)"
	.size	__PRETTY_FUNCTION__._ZN3sop14minatoIsop5RecEjjiPNS_3SopEP7VecsMemIjLi8192EE, 119

	.type	.str.27,@object                 ; @.str.27
.str.27:
	.asciz	"(uOn & ~uOnDc) == 0"
	.size	.str.27, 20

	.type	.str.28,@object                 ; @.str.28
.str.28:
	.asciz	"try to decrease K in refactor !!!\n"
	.size	.str.28, 35

	.type	.str.29,@object                 ; @.str.29
.str.29:
	.asciz	"0"
	.size	.str.29, 2

	.type	__PRETTY_FUNCTION__._ZN7VecsMemIjLi8192EE5fetchEi,@object ; @__PRETTY_FUNCTION__._ZN7VecsMemIjLi8192EE5fetchEi
__PRETTY_FUNCTION__._ZN7VecsMemIjLi8192EE5fetchEi:
	.asciz	"T *VecsMem<unsigned int, 8192>::fetch(int) [T = unsigned int, nCap = 8192]"
	.size	__PRETTY_FUNCTION__._ZN7VecsMemIjLi8192EE5fetchEi, 75

	.type	.str.30,@object                 ; @.str.30
.str.30:
	.asciz	"nVars < 16"
	.size	.str.30, 11

	.type	.str.31,@object                 ; @.str.31
.str.31:
	.asciz	"/root/src/amdgpu-assembly/repos/zjin-lcf__HeCBench/src/logic-rewrite-hip/alg_factor.cuh"
	.size	.str.31, 88

	.type	__PRETTY_FUNCTION__._ZN3sop9sopFactorEPjiiPKiiP7VecsMemIjLi8192EEPN8subgUtil4SubgILi256EEE,@object ; @__PRETTY_FUNCTION__._ZN3sop9sopFactorEPjiiPKiiP7VecsMemIjLi8192EEPN8subgUtil4SubgILi256EEE
__PRETTY_FUNCTION__._ZN3sop9sopFactorEPjiiPKiiP7VecsMemIjLi8192EEPN8subgUtil4SubgILi256EEE:
	.asciz	"void sop::sopFactor(unsigned int *, int, int, const int *, int, VecsMem<unsigned int, ISOP_FACTOR_MEM_CAP> *, subgUtil::Subg<SUBG_CAP> *)"
	.size	__PRETTY_FUNCTION__._ZN3sop9sopFactorEPjiiPKiiP7VecsMemIjLi8192EEPN8subgUtil4SubgILi256EEE, 138

	.type	.str.32,@object                 ; @.str.32
.str.32:
	.asciz	"subg->nSize == nVars"
	.size	.str.32, 21

	.type	.str.33,@object                 ; @.str.33
.str.33:
	.asciz	"cSop->nCubes > 0"
	.size	.str.33, 17

	.type	__PRETTY_FUNCTION__._ZN3sop12sopFactorRecEPNS_3SopEiP7VecsMemIjLi8192EEPN8subgUtil4SubgILi256EEE,@object ; @__PRETTY_FUNCTION__._ZN3sop12sopFactorRecEPNS_3SopEiP7VecsMemIjLi8192EEPN8subgUtil4SubgILi256EEE
__PRETTY_FUNCTION__._ZN3sop12sopFactorRecEPNS_3SopEiP7VecsMemIjLi8192EEPN8subgUtil4SubgILi256EEE:
	.asciz	"int sop::sopFactorRec(Sop *, int, VecsMem<unsigned int, ISOP_FACTOR_MEM_CAP> *, subgUtil::Subg<SUBG_CAP> *)"
	.size	__PRETTY_FUNCTION__._ZN3sop12sopFactorRecEPNS_3SopEiP7VecsMemIjLi8192EEPN8subgUtil4SubgILi256EEE, 108

	.type	.str.34,@object                 ; @.str.34
.str.34:
	.asciz	"cQuo->nCubes > 0"
	.size	.str.34, 17

	.type	.str.35,@object                 ; @.str.35
.str.35:
	.asciz	"cResult->nCubes > 0"
	.size	.str.35, 20

	.type	__PRETTY_FUNCTION__._ZN3sop10sopDivisorEPNS_3SopES1_iP7VecsMemIjLi8192EE,@object ; @__PRETTY_FUNCTION__._ZN3sop10sopDivisorEPNS_3SopES1_iP7VecsMemIjLi8192EE
__PRETTY_FUNCTION__._ZN3sop10sopDivisorEPNS_3SopES1_iP7VecsMemIjLi8192EE:
	.asciz	"int sop::sopDivisor(Sop *, Sop *, int, VecsMem<unsigned int, ISOP_FACTOR_MEM_CAP> *)"
	.size	__PRETTY_FUNCTION__._ZN3sop10sopDivisorEPNS_3SopES1_iP7VecsMemIjLi8192EE, 85

	.type	.str.36,@object                 ; @.str.36
.str.36:
	.asciz	"uCube"
	.size	.str.36, 6

	.type	__PRETTY_FUNCTION__._ZN3sop23sopFactorTrivialCubeRecEjiiPN8subgUtil4SubgILi256EEE,@object ; @__PRETTY_FUNCTION__._ZN3sop23sopFactorTrivialCubeRecEjiiPN8subgUtil4SubgILi256EEE
__PRETTY_FUNCTION__._ZN3sop23sopFactorTrivialCubeRecEjiiPN8subgUtil4SubgILi256EEE:
	.asciz	"int sop::sopFactorTrivialCubeRec(unsigned int, int, int, subgUtil::Subg<SUBG_CAP> *)"
	.size	__PRETTY_FUNCTION__._ZN3sop23sopFactorTrivialCubeRecEjiiPN8subgUtil4SubgILi256EEE, 85

	.type	.str.37,@object                 ; @.str.37
.str.37:
	.asciz	"iLit != -1"
	.size	.str.37, 11

	.type	.str.38,@object                 ; @.str.38
.str.38:
	.asciz	"cSop->nCubes >= cDiv->nCubes"
	.size	.str.38, 29

	.type	__PRETTY_FUNCTION__._ZN3sop17sopDivideInternalEPNS_3SopES1_S1_S1_P7VecsMemIjLi8192EE,@object ; @__PRETTY_FUNCTION__._ZN3sop17sopDivideInternalEPNS_3SopES1_S1_S1_P7VecsMemIjLi8192EE
__PRETTY_FUNCTION__._ZN3sop17sopDivideInternalEPNS_3SopES1_S1_S1_P7VecsMemIjLi8192EE:
	.asciz	"void sop::sopDivideInternal(Sop *, Sop *, Sop *, Sop *, VecsMem<unsigned int, ISOP_FACTOR_MEM_CAP> *)"
	.size	__PRETTY_FUNCTION__._ZN3sop17sopDivideInternalEPNS_3SopES1_S1_S1_P7VecsMemIjLi8192EE, 102

	.type	.str.39,@object                 ; @.str.39
.str.39:
	.asciz	"i2 < cSop->nCubes"
	.size	.str.39, 18

	.type	.str.40,@object                 ; @.str.40
.str.40:
	.asciz	"nCubesRem == vRem->nCubes"
	.size	.str.40, 26

	.type	.str.43,@object                 ; @.str.43
.str.43:
	.asciz	"nSize < nCap"
	.size	.str.43, 13

	.type	.str.44,@object                 ; @.str.44
.str.44:
	.asciz	"/root/src/amdgpu-assembly/repos/zjin-lcf__HeCBench/src/logic-rewrite-hip/sop.cuh"
	.size	.str.44, 81

	.type	__PRETTY_FUNCTION__._ZN8subgUtil4SubgILi256EE10addNodeAndEii,@object ; @__PRETTY_FUNCTION__._ZN8subgUtil4SubgILi256EE10addNodeAndEii
__PRETTY_FUNCTION__._ZN8subgUtil4SubgILi256EE10addNodeAndEii:
	.asciz	"int subgUtil::Subg<256>::addNodeAnd(int, int) [nCap = 256]"
	.size	__PRETTY_FUNCTION__._ZN8subgUtil4SubgILi256EE10addNodeAndEii, 59

	.type	__PRETTY_FUNCTION__._ZN8subgUtil4SubgILi256EE9addNodeOrEii,@object ; @__PRETTY_FUNCTION__._ZN8subgUtil4SubgILi256EE9addNodeOrEii
__PRETTY_FUNCTION__._ZN8subgUtil4SubgILi256EE9addNodeOrEii:
	.asciz	"int subgUtil::Subg<256>::addNodeOr(int, int) [nCap = 256]"
	.size	__PRETTY_FUNCTION__._ZN8subgUtil4SubgILi256EE9addNodeOrEii, 58

	.type	.str.45,@object                 ; @.str.45
.str.45:
	.asciz	"%d %d\n"
	.size	.str.45, 7

	.type	__PRETTY_FUNCTION__._ZN3sop18sopCommonCubeCoverEPNS_3SopES1_P7VecsMemIjLi8192EE,@object ; @__PRETTY_FUNCTION__._ZN3sop18sopCommonCubeCoverEPNS_3SopES1_P7VecsMemIjLi8192EE
__PRETTY_FUNCTION__._ZN3sop18sopCommonCubeCoverEPNS_3SopES1_P7VecsMemIjLi8192EE:
	.asciz	"void sop::sopCommonCubeCover(Sop *, Sop *, VecsMem<unsigned int, ISOP_FACTOR_MEM_CAP> *)"
	.size	__PRETTY_FUNCTION__._ZN3sop18sopCommonCubeCoverEPNS_3SopES1_P7VecsMemIjLi8192EE, 89

	.type	.str.46,@object                 ; @.str.46
.str.46:
	.asciz	"lit1 >= 0 && lit2 >= 0 && (fComp == 0 || fComp == 1) && lit1 <= lit2"
	.size	.str.46, 69

	.type	__PRETTY_FUNCTION__._ZN8subgUtil18formAndNodeKeyFlagEiii,@object ; @__PRETTY_FUNCTION__._ZN8subgUtil18formAndNodeKeyFlagEiii
__PRETTY_FUNCTION__._ZN8subgUtil18formAndNodeKeyFlagEiii:
	.asciz	"uint64 subgUtil::formAndNodeKeyFlag(const int, const int, const int)"
	.size	__PRETTY_FUNCTION__._ZN8subgUtil18formAndNodeKeyFlagEiii, 69

	.type	__hip_cuid_4b9e6dee0e858387,@object ; @__hip_cuid_4b9e6dee0e858387
	.section	.bss,"aw",@nobits
	.globl	__hip_cuid_4b9e6dee0e858387
__hip_cuid_4b9e6dee0e858387:
	.byte	0                               ; 0x0
	.size	__hip_cuid_4b9e6dee0e858387, 1

	.ident	"AMD clang version 22.0.0git (https://github.com/RadeonOpenCompute/llvm-project roc-7.2.4 26084 f58b06dce1f9c15707c5f808fd002e18c2accf7e)"
	.section	".note.GNU-stack","",@progbits
	.addrsig
	.addrsig_sym __hip_cuid_4b9e6dee0e858387
	.amdgpu_metadata
---
amdhsa.kernels:
  - .args:
      - .address_space:  global
        .offset:         0
        .size:           8
        .value_kind:     global_buffer
      - .address_space:  global
        .offset:         8
        .size:           8
        .value_kind:     global_buffer
      - .address_space:  global
        .offset:         16
        .size:           8
        .value_kind:     global_buffer
      - .address_space:  global
        .offset:         24
        .size:           8
        .value_kind:     global_buffer
      - .address_space:  global
        .offset:         32
        .size:           8
        .value_kind:     global_buffer
      - .address_space:  global
        .offset:         40
        .size:           8
        .value_kind:     global_buffer
      - .offset:         48
        .size:           4
        .value_kind:     by_value
      - .address_space:  global
        .offset:         56
        .size:           8
        .value_kind:     global_buffer
      - .address_space:  global
        .offset:         64
        .size:           8
        .value_kind:     global_buffer
      - .address_space:  global
        .offset:         72
        .size:           8
        .value_kind:     global_buffer
      - .address_space:  global
        .offset:         80
        .size:           8
        .value_kind:     global_buffer
      - .address_space:  global
        .offset:         88
        .size:           8
        .value_kind:     global_buffer
      - .address_space:  global
        .offset:         96
        .size:           8
        .value_kind:     global_buffer
      - .address_space:  global
        .offset:         104
        .size:           8
        .value_kind:     global_buffer
      - .address_space:  global
        .offset:         112
        .size:           8
        .value_kind:     global_buffer
      - .offset:         120
        .size:           4
        .value_kind:     by_value
      - .offset:         124
        .size:           4
        .value_kind:     by_value
      - .offset:         128
        .size:           4
        .value_kind:     hidden_block_count_x
      - .offset:         132
        .size:           4
        .value_kind:     hidden_block_count_y
      - .offset:         136
        .size:           4
        .value_kind:     hidden_block_count_z
      - .offset:         140
        .size:           2
        .value_kind:     hidden_group_size_x
      - .offset:         142
        .size:           2
        .value_kind:     hidden_group_size_y
      - .offset:         144
        .size:           2
        .value_kind:     hidden_group_size_z
      - .offset:         146
        .size:           2
        .value_kind:     hidden_remainder_x
      - .offset:         148
        .size:           2
        .value_kind:     hidden_remainder_y
      - .offset:         150
        .size:           2
        .value_kind:     hidden_remainder_z
      - .offset:         168
        .size:           8
        .value_kind:     hidden_global_offset_x
      - .offset:         176
        .size:           8
        .value_kind:     hidden_global_offset_y
      - .offset:         184
        .size:           8
        .value_kind:     hidden_global_offset_z
      - .offset:         192
        .size:           2
        .value_kind:     hidden_grid_dims
      - .offset:         208
        .size:           8
        .value_kind:     hidden_hostcall_buffer
    .group_segment_fixed_size: 0
    .kernarg_segment_align: 8
    .kernarg_segment_size: 384
    .language:       OpenCL C
    .language_version:
      - 2
      - 0
    .max_flat_workgroup_size: 1024
    .name:           _Z8resynCutPKiS0_S0_S0_PKyPKjiS0_PyPiS6_S6_PjS0_S4_ii
    .private_segment_fixed_size: 41440
    .sgpr_count:     107
    .sgpr_spill_count: 135
    .symbol:         _Z8resynCutPKiS0_S0_S0_PKyPKjiS0_PyPiS6_S6_PjS0_S4_ii.kd
    .uniform_work_group_size: 1
    .uses_dynamic_stack: true
    .vgpr_count:     124
    .vgpr_spill_count: 6
    .wavefront_size: 32
  - .args:
      - .address_space:  global
        .offset:         0
        .size:           8
        .value_kind:     global_buffer
      - .address_space:  global
        .offset:         8
        .size:           8
        .value_kind:     global_buffer
      - .address_space:  global
        .offset:         16
        .size:           8
        .value_kind:     global_buffer
      - .address_space:  global
        .offset:         24
        .size:           8
        .value_kind:     global_buffer
      - .address_space:  global
        .offset:         32
        .size:           8
        .value_kind:     global_buffer
      - .address_space:  global
        .offset:         40
        .size:           8
        .value_kind:     global_buffer
      - .address_space:  global
        .offset:         48
        .size:           8
        .value_kind:     global_buffer
      - .address_space:  global
        .offset:         56
        .size:           8
        .value_kind:     global_buffer
      - .address_space:  global
        .offset:         64
        .size:           8
        .value_kind:     global_buffer
      - .address_space:  global
        .offset:         72
        .size:           8
        .value_kind:     global_buffer
      - .offset:         80
        .size:           4
        .value_kind:     by_value
      - .offset:         88
        .size:           4
        .value_kind:     hidden_block_count_x
      - .offset:         92
        .size:           4
        .value_kind:     hidden_block_count_y
      - .offset:         96
        .size:           4
        .value_kind:     hidden_block_count_z
      - .offset:         100
        .size:           2
        .value_kind:     hidden_group_size_x
      - .offset:         102
        .size:           2
        .value_kind:     hidden_group_size_y
      - .offset:         104
        .size:           2
        .value_kind:     hidden_group_size_z
      - .offset:         106
        .size:           2
        .value_kind:     hidden_remainder_x
      - .offset:         108
        .size:           2
        .value_kind:     hidden_remainder_y
      - .offset:         110
        .size:           2
        .value_kind:     hidden_remainder_z
      - .offset:         128
        .size:           8
        .value_kind:     hidden_global_offset_x
      - .offset:         136
        .size:           8
        .value_kind:     hidden_global_offset_y
      - .offset:         144
        .size:           8
        .value_kind:     hidden_global_offset_z
      - .offset:         152
        .size:           2
        .value_kind:     hidden_grid_dims
      - .offset:         168
        .size:           8
        .value_kind:     hidden_hostcall_buffer
    .group_segment_fixed_size: 0
    .kernarg_segment_align: 8
    .kernarg_segment_size: 344
    .language:       OpenCL C
    .language_version:
      - 2
      - 0
    .max_flat_workgroup_size: 1024
    .name:           _Z15factorFromTruthPKiS0_PyPiS2_S2_PKjS4_S0_S4_i
    .private_segment_fixed_size: 35216
    .sgpr_count:     107
    .sgpr_spill_count: 21
    .symbol:         _Z15factorFromTruthPKiS0_PyPiS2_S2_PKjS4_S0_S4_i.kd
    .uniform_work_group_size: 1
    .uses_dynamic_stack: true
    .vgpr_count:     108
    .vgpr_spill_count: 0
    .wavefront_size: 32
amdhsa.target:   amdgcn-amd-amdhsa--gfx1250
amdhsa.version:
  - 1
  - 2
...

	.end_amdgpu_metadata
